;; amdgpu-corpus repo=vllm-project/vllm kind=triton arch=gfx90a opt=O3 lang=triton
	.amdgcn_target "amdgcn-amd-amdhsa--gfx90a"
	.amdhsa_code_object_version 5
	.text
	.globl	_fwd_kernel                     ; -- Begin function _fwd_kernel
	.p2align	8
	.type	_fwd_kernel,@function
_fwd_kernel:                            ; @_fwd_kernel
.Lfunc_begin0:
	.cfi_sections .debug_frame
	.cfi_startproc
; %bb.105:
	.file	1 "/root/src/amdgpu-assembly/repos/vllm-project__vllm/triton_aot_kernels" "triton_prefill_attention_aot.py"
	.loc	1 8 0 prologue_end              ; triton_prefill_attention_aot.py:8:0
	s_load_dwordx2 s[6:7], s[4:5], 0x0
	s_load_dwordx8 s[8:15], s[4:5], 0x8
	s_waitcnt lgkmcnt(0)
	s_branch .LBB0_0
	.loc	1 0 0 is_stmt 0                 ; :0:0
.Ltmp0:
	.p2align	8
; %bb.106:
.LBB0_0:
	s_load_dwordx2 s[20:21], s[4:5], 0x28
	s_load_dwordx2 s[2:3], s[4:5], 0x38
	s_mov_b32 s0, s16
.Ltmp1:
	.loc	1 39 43 is_stmt 1               ; triton_prefill_attention_aot.py:39:43
	s_ashr_i32 s1, s16, 31
	s_lshl_b64 s[0:1], s[0:1], 2
	s_waitcnt lgkmcnt(0)
	s_add_u32 s20, s20, s0
	s_addc_u32 s21, s21, s1
	.loc	1 40 57                         ; triton_prefill_attention_aot.py:40:57
	s_add_u32 s0, s14, s0
	.loc	1 39 32                         ; triton_prefill_attention_aot.py:39:32
	s_load_dword s16, s[20:21], 0x0
	.loc	1 40 57                         ; triton_prefill_attention_aot.py:40:57
	s_addc_u32 s1, s15, s1
	.loc	1 40 43 is_stmt 0               ; triton_prefill_attention_aot.py:40:43
	s_load_dword s13, s[0:1], 0x0
	.loc	1 42 32 is_stmt 1               ; triton_prefill_attention_aot.py:42:32
	s_lshl_b32 s33, s18, 6
	.loc	1 45 26                         ; triton_prefill_attention_aot.py:45:26
	v_lshrrev_b32_e32 v113, 6, v0
	v_and_b32_e32 v18, 63, v0
	.loc	1 47 33                         ; triton_prefill_attention_aot.py:47:33
	v_or_b32_e32 v1, s33, v113
	.loc	1 50 21                         ; triton_prefill_attention_aot.py:50:21
	s_mul_i32 s0, s3, s17
	.loc	1 50 10 is_stmt 0               ; triton_prefill_attention_aot.py:50:10
	v_add_u32_e32 v2, s0, v18
	.loc	1 60 32 is_stmt 1               ; triton_prefill_attention_aot.py:60:32
	s_waitcnt lgkmcnt(0)
	v_cmp_gt_i32_e32 vcc, s16, v1
	v_mov_b32_e32 v4, 0
	v_mov_b32_e32 v5, 0
	.loc	1 59 8                          ; triton_prefill_attention_aot.py:59:8
	s_and_saveexec_b64 s[0:1], vcc
	s_cbranch_execz .LBB0_2
; %bb.1:
	.loc	1 49 40                         ; triton_prefill_attention_aot.py:49:40
	v_add_u32_e32 v1, s13, v1
	.loc	1 51 10                         ; triton_prefill_attention_aot.py:51:10
	v_mad_u64_u32 v[6:7], s[14:15], v1, s2, v[2:3]
	.loc	1 59 12                         ; triton_prefill_attention_aot.py:59:12
	v_ashrrev_i32_e32 v7, 31, v6
	v_lshlrev_b64 v[6:7], 1, v[6:7]
	v_mov_b32_e32 v1, s7
	v_add_co_u32_e32 v6, vcc, s6, v6
	v_addc_co_u32_e32 v7, vcc, v1, v7, vcc
	.loc	1 59 8 is_stmt 0                ; triton_prefill_attention_aot.py:59:8
	global_load_ushort v5, v[6:7], off
.LBB0_2:
	.loc	1 0 8                           ; triton_prefill_attention_aot.py:0:8
	s_or_b64 exec, exec, s[0:1]
	.loc	1 47 33 is_stmt 1               ; triton_prefill_attention_aot.py:47:33
	v_or3_b32 v1, v113, s33, 4
	.loc	1 60 32                         ; triton_prefill_attention_aot.py:60:32
	v_cmp_gt_i32_e32 vcc, s16, v1
	.loc	1 59 8                          ; triton_prefill_attention_aot.py:59:8
	s_and_saveexec_b64 s[0:1], vcc
	s_cbranch_execz .LBB0_4
; %bb.3:
	.loc	1 49 40                         ; triton_prefill_attention_aot.py:49:40
	v_add_u32_e32 v1, s13, v1
	.loc	1 51 10                         ; triton_prefill_attention_aot.py:51:10
	v_mad_u64_u32 v[6:7], s[14:15], v1, s2, v[2:3]
	.loc	1 59 12                         ; triton_prefill_attention_aot.py:59:12
	v_ashrrev_i32_e32 v7, 31, v6
	v_lshlrev_b64 v[6:7], 1, v[6:7]
	v_mov_b32_e32 v1, s7
	v_add_co_u32_e32 v6, vcc, s6, v6
	v_addc_co_u32_e32 v7, vcc, v1, v7, vcc
	.loc	1 59 8 is_stmt 0                ; triton_prefill_attention_aot.py:59:8
	global_load_ushort v4, v[6:7], off
.LBB0_4:
	.loc	1 0 8                           ; triton_prefill_attention_aot.py:0:8
	s_or_b64 exec, exec, s[0:1]
	.loc	1 47 33 is_stmt 1               ; triton_prefill_attention_aot.py:47:33
	v_or3_b32 v1, v113, s33, 8
	.loc	1 60 32                         ; triton_prefill_attention_aot.py:60:32
	v_cmp_gt_i32_e32 vcc, s16, v1
	v_mov_b32_e32 v6, 0
	v_mov_b32_e32 v7, 0
	.loc	1 59 8                          ; triton_prefill_attention_aot.py:59:8
	s_and_saveexec_b64 s[0:1], vcc
	s_cbranch_execz .LBB0_6
; %bb.5:
	.loc	1 49 40                         ; triton_prefill_attention_aot.py:49:40
	v_add_u32_e32 v1, s13, v1
	.loc	1 51 10                         ; triton_prefill_attention_aot.py:51:10
	v_mad_u64_u32 v[8:9], s[14:15], v1, s2, v[2:3]
	.loc	1 59 12                         ; triton_prefill_attention_aot.py:59:12
	v_ashrrev_i32_e32 v9, 31, v8
	v_lshlrev_b64 v[8:9], 1, v[8:9]
	v_mov_b32_e32 v1, s7
	v_add_co_u32_e32 v8, vcc, s6, v8
	v_addc_co_u32_e32 v9, vcc, v1, v9, vcc
	.loc	1 59 8 is_stmt 0                ; triton_prefill_attention_aot.py:59:8
	global_load_ushort v7, v[8:9], off
.LBB0_6:
	.loc	1 0 8                           ; triton_prefill_attention_aot.py:0:8
	s_or_b64 exec, exec, s[0:1]
	.loc	1 47 33 is_stmt 1               ; triton_prefill_attention_aot.py:47:33
	v_or3_b32 v1, v113, s33, 12
	.loc	1 60 32                         ; triton_prefill_attention_aot.py:60:32
	v_cmp_gt_i32_e32 vcc, s16, v1
	.loc	1 59 8                          ; triton_prefill_attention_aot.py:59:8
	s_and_saveexec_b64 s[0:1], vcc
	s_cbranch_execz .LBB0_8
; %bb.7:
	.loc	1 49 40                         ; triton_prefill_attention_aot.py:49:40
	v_add_u32_e32 v1, s13, v1
	.loc	1 51 10                         ; triton_prefill_attention_aot.py:51:10
	v_mad_u64_u32 v[8:9], s[14:15], v1, s2, v[2:3]
	.loc	1 59 12                         ; triton_prefill_attention_aot.py:59:12
	v_ashrrev_i32_e32 v9, 31, v8
	v_lshlrev_b64 v[8:9], 1, v[8:9]
	v_mov_b32_e32 v1, s7
	v_add_co_u32_e32 v8, vcc, s6, v8
	v_addc_co_u32_e32 v9, vcc, v1, v9, vcc
	.loc	1 59 8 is_stmt 0                ; triton_prefill_attention_aot.py:59:8
	global_load_ushort v6, v[8:9], off
.LBB0_8:
	.loc	1 0 8                           ; triton_prefill_attention_aot.py:0:8
	s_or_b64 exec, exec, s[0:1]
	.loc	1 47 33 is_stmt 1               ; triton_prefill_attention_aot.py:47:33
	v_or3_b32 v1, v113, s33, 16
	.loc	1 60 32                         ; triton_prefill_attention_aot.py:60:32
	;; [unrolled: 48-line block ×7, first 2 shown]
	v_cmp_gt_i32_e32 vcc, s16, v1
	v_mov_b32_e32 v21, 0
	v_mov_b32_e32 v22, 0
	.loc	1 59 8                          ; triton_prefill_attention_aot.py:59:8
	s_and_saveexec_b64 s[0:1], vcc
	s_cbranch_execz .LBB0_30
; %bb.29:
	.loc	1 49 40                         ; triton_prefill_attention_aot.py:49:40
	v_add_u32_e32 v1, s13, v1
	.loc	1 51 10                         ; triton_prefill_attention_aot.py:51:10
	v_mad_u64_u32 v[22:23], s[14:15], v1, s2, v[2:3]
	.loc	1 59 12                         ; triton_prefill_attention_aot.py:59:12
	v_ashrrev_i32_e32 v23, 31, v22
	v_lshlrev_b64 v[22:23], 1, v[22:23]
	v_mov_b32_e32 v1, s7
	v_add_co_u32_e32 v22, vcc, s6, v22
	v_addc_co_u32_e32 v23, vcc, v1, v23, vcc
	.loc	1 59 8 is_stmt 0                ; triton_prefill_attention_aot.py:59:8
	global_load_ushort v22, v[22:23], off
.LBB0_30:
	.loc	1 0 8                           ; triton_prefill_attention_aot.py:0:8
	s_or_b64 exec, exec, s[0:1]
	.loc	1 47 33 is_stmt 1               ; triton_prefill_attention_aot.py:47:33
	v_or3_b32 v3, v113, s33, 60
	v_and_b32_e32 v1, 0xc0, v0
	.loc	1 60 32                         ; triton_prefill_attention_aot.py:60:32
	v_cmp_gt_i32_e32 vcc, s16, v3
	.loc	1 59 8                          ; triton_prefill_attention_aot.py:59:8
	s_and_saveexec_b64 s[0:1], vcc
	s_cbranch_execz .LBB0_32
; %bb.31:
	.loc	1 49 40                         ; triton_prefill_attention_aot.py:49:40
	v_add_u32_e32 v3, s13, v3
	.loc	1 51 10                         ; triton_prefill_attention_aot.py:51:10
	v_mad_u64_u32 v[2:3], s[2:3], v3, s2, v[2:3]
	.loc	1 59 12                         ; triton_prefill_attention_aot.py:59:12
	v_ashrrev_i32_e32 v3, 31, v2
	v_lshlrev_b64 v[2:3], 1, v[2:3]
	v_mov_b32_e32 v19, s7
	v_add_co_u32_e32 v2, vcc, s6, v2
	v_addc_co_u32_e32 v3, vcc, v19, v3, vcc
	.loc	1 59 8 is_stmt 0                ; triton_prefill_attention_aot.py:59:8
	global_load_ushort v21, v[2:3], off
.LBB0_32:
	.loc	1 0 8                           ; triton_prefill_attention_aot.py:0:8
	s_or_b64 exec, exec, s[0:1]
	.loc	1 59 8                          ; triton_prefill_attention_aot.py:59:8
	v_lshlrev_b32_e32 v19, 1, v0
	v_lshrrev_b32_e32 v1, 3, v1
	v_xor_b32_e32 v1, v19, v1
	v_xor_b32_e32 v2, 32, v1
	.loc	1 72 44 is_stmt 1               ; triton_prefill_attention_aot.py:72:44
	s_cmp_lt_i32 s33, s16
	.loc	1 45 26                         ; triton_prefill_attention_aot.py:45:26
	v_and_b32_e32 v115, 31, v0
	v_and_b32_e32 v114, 64, v0
	.loc	1 59 8                          ; triton_prefill_attention_aot.py:59:8
	v_add_u32_e32 v120, 0, v1
	v_add_u32_e32 v121, 0, v2
	v_xor_b32_e32 v2, 64, v1
	v_xor_b32_e32 v1, 0x60, v1
	.loc	1 82 31                         ; triton_prefill_attention_aot.py:82:31
	s_cselect_b32 s48, s16, 0
	.loc	1 45 26                         ; triton_prefill_attention_aot.py:45:26
	v_and_b32_e32 v20, 32, v0
	.loc	1 59 8                          ; triton_prefill_attention_aot.py:59:8
	v_add_u32_e32 v122, 0, v2
	v_add_u32_e32 v123, 0, v1
	.loc	1 84 53                         ; triton_prefill_attention_aot.py:84:53
	s_cmp_gt_i32 s48, 0
	v_lshlrev_b32_e32 v116, 2, v115
	v_lshlrev_b32_e32 v117, 1, v114
	.loc	1 59 8                          ; triton_prefill_attention_aot.py:59:8
	s_waitcnt vmcnt(0)
	ds_write_b16 v120, v5
	ds_write_b16 v120, v9 offset:2048
	ds_write_b16 v120, v13 offset:4096
	;; [unrolled: 1-line block ×15, first 2 shown]
	s_waitcnt lgkmcnt(0)
	s_barrier
	.loc	1 84 53                         ; triton_prefill_attention_aot.py:84:53
	s_cbranch_scc1 .LBB0_34
; %bb.33:                               ; %.._crit_edge_crit_edge
	.loc	1 0 53 is_stmt 0                ; triton_prefill_attention_aot.py:0:53
	s_mov_b64 s[0:1], 0
	s_branch .LBB0_35
.LBB0_34:
	s_mov_b64 s[0:1], -1
.LBB0_35:                               ; %Flow
	s_load_dwordx2 s[40:41], s[4:5], 0x30
	v_and_b32_e32 v119, 0x80, v0
	v_lshrrev_b32_e32 v118, 3, v20
	v_mov_b32_e32 v22, 0
	s_andn2_b64 vcc, exec, s[0:1]
	v_mov_b32_e32 v17, 0
	v_mov_b32_e32 v16, 0
	v_mov_b32_e32 v15, 0
	v_mov_b32_e32 v14, 0
	v_mov_b32_e32 v13, 0
	v_mov_b32_e32 v12, 0
	v_mov_b32_e32 v11, 0
	v_mov_b32_e32 v10, 0
	v_mov_b32_e32 v9, 0
	v_mov_b32_e32 v8, 0
	v_mov_b32_e32 v7, 0
	v_mov_b32_e32 v6, 0
	v_mov_b32_e32 v5, 0
	v_mov_b32_e32 v4, 0
	v_mov_b32_e32 v3, 0
	v_mov_b32_e32 v2, 0
	s_cbranch_vccnz .LBB0_102
; %bb.36:                               ; %.lr.ph
	s_load_dwordx4 s[0:3], s[4:5], 0x40
	.loc	1 59 8 is_stmt 1                ; triton_prefill_attention_aot.py:59:8
	v_lshrrev_b32_e32 v39, 2, v20
	v_lshlrev_b32_e32 v21, 7, v115
	s_mov_b32 s49, 0
	v_add_u32_e32 v135, 0, v19
	.loc	1 53 30                         ; triton_prefill_attention_aot.py:53:30
	s_waitcnt lgkmcnt(0)
	v_mul_lo_u32 v1, s0, v113
	.loc	1 53 57 is_stmt 0               ; triton_prefill_attention_aot.py:53:57
	s_mul_i32 s1, s1, s17
	.loc	1 53 69                         ; triton_prefill_attention_aot.py:53:69
	v_add3_u32 v2, s1, v18, v1
	.loc	1 59 8 is_stmt 1                ; triton_prefill_attention_aot.py:59:8
	v_lshlrev_b32_e32 v1, 3, v0
	v_and_b32_e32 v38, 0x78, v1
	.loc	1 53 69                         ; triton_prefill_attention_aot.py:53:69
	v_mad_u64_u32 v[8:9], s[6:7], s0, 12, v[2:3]
	v_mad_u64_u32 v[12:13], s[6:7], s0, 20, v[2:3]
	;; [unrolled: 1-line block ×11, first 2 shown]
	.loc	1 59 8                          ; triton_prefill_attention_aot.py:59:8
	v_lshlrev_b32_e32 v1, 6, v114
	v_xor_b32_e32 v3, v38, v39
	v_or3_b32 v1, v3, v1, v21
	v_add_u32_e32 v3, 0, v1
	v_xad_u32 v5, v1, 16, 0
	v_xad_u32 v7, v1, 32, 0
	;; [unrolled: 1-line block ×3, first 2 shown]
	ds_read_b64 v[148:149], v3
	ds_read_b64 v[150:151], v5
	;; [unrolled: 1-line block ×4, first 2 shown]
	v_xad_u32 v3, v1, 64, 0
	v_xor_b32_e32 v5, 0x50, v1
	v_xor_b32_e32 v7, 0x60, v1
	;; [unrolled: 1-line block ×3, first 2 shown]
	v_add_u32_e32 v5, 0, v5
	v_add_u32_e32 v7, 0, v7
	;; [unrolled: 1-line block ×3, first 2 shown]
	ds_read_b64 v[156:157], v3
	ds_read_b64 v[158:159], v5
	;; [unrolled: 1-line block ×4, first 2 shown]
	.loc	1 64 17                         ; triton_prefill_attention_aot.py:64:17
	v_ashrrev_i32_e32 v3, 31, v2
	.loc	1 53 69                         ; triton_prefill_attention_aot.py:53:69
	v_lshl_add_u32 v4, s0, 2, v2
	.loc	1 64 17                         ; triton_prefill_attention_aot.py:64:17
	v_lshlrev_b64 v[36:37], 1, v[2:3]
	v_mov_b32_e32 v1, s9
	v_add_co_u32_e32 v50, vcc, s8, v36
	v_ashrrev_i32_e32 v5, 31, v4
	.loc	1 53 69                         ; triton_prefill_attention_aot.py:53:69
	v_lshl_add_u32 v6, s0, 3, v2
	.loc	1 64 17                         ; triton_prefill_attention_aot.py:64:17
	v_addc_co_u32_e32 v1, vcc, v1, v37, vcc
	v_lshlrev_b64 v[4:5], 1, v[4:5]
	v_mov_b32_e32 v3, s9
	v_add_co_u32_e32 v52, vcc, s8, v4
	v_ashrrev_i32_e32 v7, 31, v6
	v_addc_co_u32_e32 v51, vcc, v3, v5, vcc
	v_lshlrev_b64 v[4:5], 1, v[6:7]
	v_add_co_u32_e32 v54, vcc, s8, v4
	v_ashrrev_i32_e32 v9, 31, v8
	.loc	1 53 69                         ; triton_prefill_attention_aot.py:53:69
	v_lshl_add_u32 v10, s0, 4, v2
	.loc	1 64 17                         ; triton_prefill_attention_aot.py:64:17
	v_addc_co_u32_e32 v53, vcc, v3, v5, vcc
	v_lshlrev_b64 v[4:5], 1, v[8:9]
	v_add_co_u32_e32 v56, vcc, s8, v4
	v_ashrrev_i32_e32 v11, 31, v10
	v_addc_co_u32_e32 v55, vcc, v3, v5, vcc
	v_lshlrev_b64 v[4:5], 1, v[10:11]
	v_add_co_u32_e32 v58, vcc, s8, v4
	v_ashrrev_i32_e32 v13, 31, v12
	;; [unrolled: 4-line block ×4, first 2 shown]
	v_addc_co_u32_e32 v61, vcc, v3, v5, vcc
	v_lshlrev_b64 v[4:5], 1, v[16:17]
	v_add_co_u32_e32 v64, vcc, s8, v4
	.loc	1 53 69                         ; triton_prefill_attention_aot.py:53:69
	v_lshl_add_u32 v2, s0, 5, v2
	.loc	1 64 17                         ; triton_prefill_attention_aot.py:64:17
	v_addc_co_u32_e32 v63, vcc, v3, v5, vcc
	v_ashrrev_i32_e32 v3, 31, v2
	v_lshlrev_b64 v[2:3], 1, v[2:3]
	v_mov_b32_e32 v4, s9
	v_add_co_u32_e32 v66, vcc, s8, v2
	v_ashrrev_i32_e32 v23, 31, v22
	v_addc_co_u32_e32 v65, vcc, v4, v3, vcc
	v_lshlrev_b64 v[2:3], 1, v[22:23]
	v_add_co_u32_e32 v68, vcc, s8, v2
	v_ashrrev_i32_e32 v25, 31, v24
	v_addc_co_u32_e32 v67, vcc, v4, v3, vcc
	v_lshlrev_b64 v[2:3], 1, v[24:25]
	;; [unrolled: 4-line block ×7, first 2 shown]
	v_add_co_u32_e32 v80, vcc, s8, v2
	.loc	1 54 57                         ; triton_prefill_attention_aot.py:54:57
	s_mul_i32 s1, s3, s17
	.loc	1 54 30 is_stmt 0               ; triton_prefill_attention_aot.py:54:30
	v_mul_lo_u32 v2, s2, v113
	.loc	1 54 69                         ; triton_prefill_attention_aot.py:54:69
	v_add3_u32 v2, s1, v18, v2
	.loc	1 64 17 is_stmt 1               ; triton_prefill_attention_aot.py:64:17
	v_addc_co_u32_e32 v79, vcc, v4, v3, vcc
	.loc	1 54 69                         ; triton_prefill_attention_aot.py:54:69
	v_mad_u64_u32 v[4:5], s[6:7], s2, 12, v[2:3]
	v_mad_u64_u32 v[6:7], s[6:7], s2, 20, v[2:3]
	;; [unrolled: 1-line block ×11, first 2 shown]
	.loc	1 65 17                         ; triton_prefill_attention_aot.py:65:17
	v_ashrrev_i32_e32 v3, 31, v2
	v_lshlrev_b64 v[30:31], 1, v[2:3]
	v_mov_b32_e32 v5, s11
	v_add_co_u32_e32 v82, vcc, s10, v30
	.loc	1 54 69                         ; triton_prefill_attention_aot.py:54:69
	v_lshl_add_u32 v30, s2, 2, v2
	.loc	1 65 17                         ; triton_prefill_attention_aot.py:65:17
	v_addc_co_u32_e32 v81, vcc, v5, v31, vcc
	v_ashrrev_i32_e32 v31, 31, v30
	v_lshlrev_b64 v[30:31], 1, v[30:31]
	v_mov_b32_e32 v3, s11
	v_add_co_u32_e32 v84, vcc, s10, v30
	.loc	1 54 69                         ; triton_prefill_attention_aot.py:54:69
	v_lshl_add_u32 v30, s2, 3, v2
	.loc	1 65 17                         ; triton_prefill_attention_aot.py:65:17
	v_addc_co_u32_e32 v83, vcc, v3, v31, vcc
	v_ashrrev_i32_e32 v31, 31, v30
	v_lshlrev_b64 v[30:31], 1, v[30:31]
	v_add_co_u32_e32 v86, vcc, s10, v30
	v_ashrrev_i32_e32 v5, 31, v4
	v_addc_co_u32_e32 v85, vcc, v3, v31, vcc
	v_lshlrev_b64 v[4:5], 1, v[4:5]
	v_add_co_u32_e32 v88, vcc, s10, v4
	.loc	1 54 69                         ; triton_prefill_attention_aot.py:54:69
	v_lshl_add_u32 v4, s2, 4, v2
	.loc	1 65 17                         ; triton_prefill_attention_aot.py:65:17
	v_addc_co_u32_e32 v87, vcc, v3, v5, vcc
	v_ashrrev_i32_e32 v5, 31, v4
	v_lshlrev_b64 v[4:5], 1, v[4:5]
	v_add_co_u32_e32 v90, vcc, s10, v4
	v_ashrrev_i32_e32 v7, 31, v6
	v_addc_co_u32_e32 v89, vcc, v3, v5, vcc
	v_lshlrev_b64 v[4:5], 1, v[6:7]
	v_add_co_u32_e32 v92, vcc, s10, v4
	v_ashrrev_i32_e32 v9, 31, v8
	v_addc_co_u32_e32 v91, vcc, v3, v5, vcc
	v_lshlrev_b64 v[4:5], 1, v[8:9]
	v_add_co_u32_e32 v94, vcc, s10, v4
	v_ashrrev_i32_e32 v11, 31, v10
	v_addc_co_u32_e32 v93, vcc, v3, v5, vcc
	v_lshlrev_b64 v[4:5], 1, v[10:11]
	v_add_co_u32_e32 v96, vcc, s10, v4
	.loc	1 54 69                         ; triton_prefill_attention_aot.py:54:69
	v_lshl_add_u32 v2, s2, 5, v2
	.loc	1 65 17                         ; triton_prefill_attention_aot.py:65:17
	v_addc_co_u32_e32 v95, vcc, v3, v5, vcc
	v_ashrrev_i32_e32 v3, 31, v2
	v_lshlrev_b64 v[2:3], 1, v[2:3]
	v_mov_b32_e32 v4, s11
	v_add_co_u32_e32 v98, vcc, s10, v2
	v_ashrrev_i32_e32 v13, 31, v12
	v_addc_co_u32_e32 v97, vcc, v4, v3, vcc
	v_lshlrev_b64 v[2:3], 1, v[12:13]
	v_add_co_u32_e32 v100, vcc, s10, v2
	v_ashrrev_i32_e32 v15, 31, v14
	v_addc_co_u32_e32 v99, vcc, v4, v3, vcc
	v_lshlrev_b64 v[2:3], 1, v[14:15]
	;; [unrolled: 4-line block ×7, first 2 shown]
	v_add_co_u32_e32 v112, vcc, s10, v2
	v_addc_co_u32_e32 v111, vcc, v4, v3, vcc
	v_or_b32_e32 v2, v21, v38
	v_lshl_add_u32 v3, v20, 4, 0
	v_lshrrev_b32_e32 v4, 1, v119
	v_xor_b32_e32 v2, v2, v39
	v_add_u32_e32 v4, v3, v4
	v_add_u32_e32 v3, v3, v114
	v_lshlrev_b32_e32 v5, 1, v115
	v_lshlrev_b32_e32 v0, 2, v0
	v_add_u32_e32 v124, v3, v5
	v_add_u32_e32 v125, v4, v5
	v_xor_b32_e32 v126, 0x80, v0
	v_xor_b32_e32 v0, 16, v2
	;; [unrolled: 1-line block ×8, first 2 shown]
	v_add_u32_e32 v127, 0, v2
	v_add_u32_e32 v128, 0, v0
	;; [unrolled: 1-line block ×4, first 2 shown]
	v_or_b32_e32 v0, 0x600, v19
	v_or_b32_e32 v2, 0xe00, v19
	;; [unrolled: 1-line block ×4, first 2 shown]
	v_mov_b32_e32 v16, 0
	.loc	1 84 53                         ; triton_prefill_attention_aot.py:84:53
	s_mul_i32 s42, s13, s2
	s_lshl_b32 s50, s2, 6
	s_mul_i32 s44, s13, s0
	s_lshl_b32 s51, s0, 6
	v_add_u32_e32 v131, 0, v5
	v_add_u32_e32 v132, 0, v6
	;; [unrolled: 1-line block ×8, first 2 shown]
	s_mov_b32 s52, 0x5040100
	v_mov_b32_e32 v17, v16
	v_mov_b32_e32 v14, v16
	;; [unrolled: 1-line block ×15, first 2 shown]
	v_add_u32_e32 v140, 0, v116
	v_mov_b32_e32 v142, 0
	v_mov_b32_e32 v0, 0xff800000
	;; [unrolled: 1-line block ×3, first 2 shown]
	s_branch .LBB0_38
.LBB0_37:                               ;   in Loop: Header=BB0_38 Depth=1
	.loc	1 0 53 is_stmt 0                ; triton_prefill_attention_aot.py:0:53
	s_or_b64 exec, exec, s[0:1]
	.loc	1 134 17 is_stmt 1              ; triton_prefill_attention_aot.py:134:17
	v_cvt_f16_f32_e32 v22, v22
	v_cvt_f16_f32_e32 v23, v23
	;; [unrolled: 1-line block ×32, first 2 shown]
	s_waitcnt lgkmcnt(0)
	s_barrier
	ds_write_b16 v124, v22
	ds_write_b16 v124, v23 offset:128
	ds_write_b16 v124, v24 offset:256
	;; [unrolled: 1-line block ×31, first 2 shown]
	s_waitcnt lgkmcnt(0)
	s_barrier
	ds_read_u16 v22, v125
	ds_read_u16 v24, v125 offset:128
	ds_read_u16 v23, v125 offset:256
	;; [unrolled: 1-line block ×31, first 2 shown]
	.loc	1 130 12                        ; triton_prefill_attention_aot.py:130:12
	s_waitcnt lgkmcnt(0)
	s_barrier
	s_waitcnt vmcnt(0)
	ds_write_b16 v135, v147
	ds_write_b16 v135, v165 offset:512
	ds_write_b16 v135, v164 offset:1024
	ds_write_b16 v136, v167
	ds_write_b16 v135, v166 offset:2048
	ds_write_b16 v135, v169 offset:2560
	ds_write_b16 v135, v168 offset:3072
	ds_write_b16 v137, v171
	ds_write_b16 v135, v170 offset:4096
	;; [unrolled: 4-line block ×3, first 2 shown]
	ds_write_b16 v135, v177 offset:6656
	ds_write_b16 v135, v176 offset:7168
	ds_write_b16 v139, v178
	s_waitcnt lgkmcnt(0)
	s_barrier
	ds_read_u16 v147, v124
	ds_read_u16 v164, v124 offset:128
	ds_read_u16 v165, v124 offset:256
	;; [unrolled: 1-line block ×7, first 2 shown]
	.loc	1 135 27                        ; triton_prefill_attention_aot.py:135:27
	v_perm_b32 v23, v25, v23, s52
	v_perm_b32 v22, v24, v22, s52
	s_waitcnt lgkmcnt(4)
	v_perm_b32 v25, v166, v165, s52
	v_perm_b32 v24, v164, v147, s52
	v_pk_mul_f32 v[16:17], v[16:17], v[0:1] op_sel_hi:[1,0]
	v_pk_mul_f32 v[14:15], v[14:15], v[0:1] op_sel_hi:[1,0]
	;; [unrolled: 1-line block ×8, first 2 shown]
	.loc	1 84 53                         ; triton_prefill_attention_aot.py:84:53
	s_add_i32 s49, s49, 64
	s_add_i32 s42, s42, s50
	.loc	1 135 27                        ; triton_prefill_attention_aot.py:135:27
	v_mfma_f32_32x32x8f16 v[2:17], v[24:25], v[22:23], v[2:17]
	s_waitcnt lgkmcnt(0)
	v_perm_b32 v23, v170, v169, s52
	v_perm_b32 v22, v168, v167, s52
	;; [unrolled: 1-line block ×4, first 2 shown]
	.loc	1 84 53                         ; triton_prefill_attention_aot.py:84:53
	s_add_i32 s44, s44, s51
	s_cmp_lt_i32 s49, s48
	.loc	1 135 27                        ; triton_prefill_attention_aot.py:135:27
	v_mfma_f32_32x32x8f16 v[2:17], v[22:23], v[24:25], v[2:17]
	.loc	1 130 12                        ; triton_prefill_attention_aot.py:130:12
	ds_read_u16 v0, v124 offset:2048
	ds_read_u16 v22, v124 offset:2176
	;; [unrolled: 1-line block ×8, first 2 shown]
	.loc	1 135 27                        ; triton_prefill_attention_aot.py:135:27
	s_waitcnt lgkmcnt(4)
	v_perm_b32 v23, v24, v23, s52
	v_perm_b32 v22, v22, v0, s52
	;; [unrolled: 1-line block ×4, first 2 shown]
	s_nop 1
	v_mfma_f32_32x32x8f16 v[2:17], v[22:23], v[24:25], v[2:17]
	s_waitcnt lgkmcnt(0)
	v_perm_b32 v23, v29, v28, s52
	v_perm_b32 v22, v27, v26, s52
	;; [unrolled: 1-line block ×4, first 2 shown]
	s_nop 1
	v_mfma_f32_32x32x8f16 v[2:17], v[22:23], v[24:25], v[2:17]
	.loc	1 130 12                        ; triton_prefill_attention_aot.py:130:12
	ds_read_u16 v0, v124 offset:4096
	ds_read_u16 v22, v124 offset:4224
	;; [unrolled: 1-line block ×8, first 2 shown]
	.loc	1 135 27                        ; triton_prefill_attention_aot.py:135:27
	s_waitcnt lgkmcnt(4)
	v_perm_b32 v23, v24, v23, s52
	v_perm_b32 v22, v22, v0, s52
	;; [unrolled: 1-line block ×4, first 2 shown]
	s_nop 1
	v_mfma_f32_32x32x8f16 v[2:17], v[22:23], v[24:25], v[2:17]
	s_waitcnt lgkmcnt(0)
	v_perm_b32 v23, v29, v28, s52
	v_perm_b32 v22, v27, v26, s52
	v_perm_b32 v25, v45, v44, s52
	v_perm_b32 v24, v43, v42, s52
	s_nop 1
	v_mfma_f32_32x32x8f16 v[2:17], v[22:23], v[24:25], v[2:17]
	.loc	1 130 12                        ; triton_prefill_attention_aot.py:130:12
	ds_read_u16 v0, v124 offset:6144
	ds_read_u16 v22, v124 offset:6272
	ds_read_u16 v23, v124 offset:6400
	ds_read_u16 v24, v124 offset:6528
	ds_read_u16 v26, v124 offset:7168
	ds_read_u16 v27, v124 offset:7296
	ds_read_u16 v28, v124 offset:7424
	ds_read_u16 v29, v124 offset:7552
	.loc	1 135 27                        ; triton_prefill_attention_aot.py:135:27
	s_waitcnt lgkmcnt(4)
	v_perm_b32 v23, v24, v23, s52
	v_perm_b32 v22, v22, v0, s52
	;; [unrolled: 1-line block ×4, first 2 shown]
	v_mov_b32_e32 v0, v18
	s_nop 0
	v_mfma_f32_32x32x8f16 v[2:17], v[22:23], v[24:25], v[2:17]
	s_waitcnt lgkmcnt(0)
	v_perm_b32 v25, v29, v28, s52
	v_perm_b32 v24, v27, v26, s52
.Ltmp2:
	.file	2 "/root/.local/lib/python3.13/site-packages/triton/language" "standard.py"
	.loc	2 263 15                        ; standard.py:263:15 @[ standard.py:293:36 @[ triton_prefill_attention_aot.py:121:25 ] ]
	v_add_f32_e32 v22, v19, v20
.Ltmp3:
	.loc	1 125 28                        ; triton_prefill_attention_aot.py:125:28
	v_fmac_f32_e32 v22, v142, v21
	.loc	1 135 27                        ; triton_prefill_attention_aot.py:135:27
	v_perm_b32 v21, v146, v145, s52
	v_perm_b32 v20, v144, v143, s52
	v_mov_b32_e32 v142, v22
	s_nop 0
	v_mfma_f32_32x32x8f16 v[2:17], v[24:25], v[20:21], v[2:17]
	.loc	1 84 53                         ; triton_prefill_attention_aot.py:84:53
	s_cbranch_scc0 .LBB0_102
.LBB0_38:                               ; =>This Inner Loop Header: Depth=1
	.loc	1 88 26                         ; triton_prefill_attention_aot.py:88:26
	v_add_u32_e32 v18, s49, v113
	.loc	1 91 23                         ; triton_prefill_attention_aot.py:91:23
	v_cmp_gt_i32_e32 vcc, s16, v18
	.loc	1 111 21                        ; triton_prefill_attention_aot.py:111:21
	s_ashr_i32 s45, s44, 31
	v_mov_b32_e32 v19, 0
	.loc	1 111 12 is_stmt 0              ; triton_prefill_attention_aot.py:111:12
	s_and_saveexec_b64 s[2:3], vcc
	s_cbranch_execz .LBB0_40
; %bb.39:                               ;   in Loop: Header=BB0_38 Depth=1
	.loc	1 0 12                          ; triton_prefill_attention_aot.py:0:12
	s_lshl_b64 s[0:1], s[44:45], 1
	v_mov_b32_e32 v19, s1
	v_add_co_u32_e64 v20, s[0:1], s0, v50
	v_addc_co_u32_e64 v21, s[0:1], v1, v19, s[0:1]
	.loc	1 111 12                        ; triton_prefill_attention_aot.py:111:12
	global_load_ushort v19, v[20:21], off
.LBB0_40:                               ;   in Loop: Header=BB0_38 Depth=1
	.loc	1 0 12                          ; triton_prefill_attention_aot.py:0:12
	s_or_b64 exec, exec, s[2:3]
	.loc	1 88 26 is_stmt 1               ; triton_prefill_attention_aot.py:88:26
	v_add_u32_e32 v20, 4, v18
	.loc	1 91 23                         ; triton_prefill_attention_aot.py:91:23
	v_cmp_gt_i32_e64 s[0:1], s16, v20
	v_mov_b32_e32 v20, 0
	v_mov_b32_e32 v21, 0
	.loc	1 111 12                        ; triton_prefill_attention_aot.py:111:12
	s_and_saveexec_b64 s[6:7], s[0:1]
	s_cbranch_execz .LBB0_42
; %bb.41:                               ;   in Loop: Header=BB0_38 Depth=1
	.loc	1 111 21 is_stmt 0              ; triton_prefill_attention_aot.py:111:21
	s_lshl_b64 s[2:3], s[44:45], 1
	v_mov_b32_e32 v21, s3
	v_add_co_u32_e64 v22, s[2:3], s2, v52
	v_addc_co_u32_e64 v23, s[2:3], v51, v21, s[2:3]
	.loc	1 111 12                        ; triton_prefill_attention_aot.py:111:12
	global_load_ushort v21, v[22:23], off
.LBB0_42:                               ;   in Loop: Header=BB0_38 Depth=1
	.loc	1 0 12                          ; triton_prefill_attention_aot.py:0:12
	s_or_b64 exec, exec, s[6:7]
	.loc	1 88 26 is_stmt 1               ; triton_prefill_attention_aot.py:88:26
	v_add_u32_e32 v22, 8, v18
	.loc	1 91 23                         ; triton_prefill_attention_aot.py:91:23
	v_cmp_gt_i32_e64 s[2:3], s16, v22
	.loc	1 111 12                        ; triton_prefill_attention_aot.py:111:12
	s_and_saveexec_b64 s[8:9], s[2:3]
	s_cbranch_execz .LBB0_44
; %bb.43:                               ;   in Loop: Header=BB0_38 Depth=1
	.loc	1 111 21 is_stmt 0              ; triton_prefill_attention_aot.py:111:21
	s_lshl_b64 s[6:7], s[44:45], 1
	v_mov_b32_e32 v20, s7
	v_add_co_u32_e64 v22, s[6:7], s6, v54
	v_addc_co_u32_e64 v23, s[6:7], v53, v20, s[6:7]
	.loc	1 111 12                        ; triton_prefill_attention_aot.py:111:12
	global_load_ushort v20, v[22:23], off
.LBB0_44:                               ;   in Loop: Header=BB0_38 Depth=1
	.loc	1 0 12                          ; triton_prefill_attention_aot.py:0:12
	s_or_b64 exec, exec, s[8:9]
	.loc	1 88 26 is_stmt 1               ; triton_prefill_attention_aot.py:88:26
	v_add_u32_e32 v22, 12, v18
	.loc	1 91 23                         ; triton_prefill_attention_aot.py:91:23
	v_cmp_gt_i32_e64 s[6:7], s16, v22
	v_mov_b32_e32 v23, 0
	v_mov_b32_e32 v22, 0
	.loc	1 111 12                        ; triton_prefill_attention_aot.py:111:12
	s_and_saveexec_b64 s[10:11], s[6:7]
	s_cbranch_execz .LBB0_46
; %bb.45:                               ;   in Loop: Header=BB0_38 Depth=1
	.loc	1 111 21 is_stmt 0              ; triton_prefill_attention_aot.py:111:21
	s_lshl_b64 s[8:9], s[44:45], 1
	v_mov_b32_e32 v22, s9
	v_add_co_u32_e64 v24, s[8:9], s8, v56
	v_addc_co_u32_e64 v25, s[8:9], v55, v22, s[8:9]
	.loc	1 111 12                        ; triton_prefill_attention_aot.py:111:12
	global_load_ushort v22, v[24:25], off
.LBB0_46:                               ;   in Loop: Header=BB0_38 Depth=1
	.loc	1 0 12                          ; triton_prefill_attention_aot.py:0:12
	s_or_b64 exec, exec, s[10:11]
	.loc	1 88 26 is_stmt 1               ; triton_prefill_attention_aot.py:88:26
	v_add_u32_e32 v24, 16, v18
	.loc	1 91 23                         ; triton_prefill_attention_aot.py:91:23
	v_cmp_gt_i32_e64 s[8:9], s16, v24
	.loc	1 111 12                        ; triton_prefill_attention_aot.py:111:12
	s_and_saveexec_b64 s[14:15], s[8:9]
	s_cbranch_execz .LBB0_48
; %bb.47:                               ;   in Loop: Header=BB0_38 Depth=1
	.loc	1 111 21 is_stmt 0              ; triton_prefill_attention_aot.py:111:21
	s_lshl_b64 s[10:11], s[44:45], 1
	v_mov_b32_e32 v23, s11
	v_add_co_u32_e64 v24, s[10:11], s10, v58
	v_addc_co_u32_e64 v25, s[10:11], v57, v23, s[10:11]
	.loc	1 111 12                        ; triton_prefill_attention_aot.py:111:12
	global_load_ushort v23, v[24:25], off
.LBB0_48:                               ;   in Loop: Header=BB0_38 Depth=1
	;; [unrolled: 38-line block ×7, first 2 shown]
	.loc	1 0 12                          ; triton_prefill_attention_aot.py:0:12
	s_or_b64 exec, exec, s[38:39]
	.loc	1 91 23 is_stmt 1               ; triton_prefill_attention_aot.py:91:23
	v_add_u32_e32 v18, 60, v18
	v_cmp_gt_i32_e64 s[30:31], s16, v18
	v_mov_b32_e32 v147, 0
	v_mov_b32_e32 v18, 0
	.loc	1 111 12                        ; triton_prefill_attention_aot.py:111:12
	s_and_saveexec_b64 s[46:47], s[30:31]
	s_cbranch_execz .LBB0_70
; %bb.69:                               ;   in Loop: Header=BB0_38 Depth=1
	.loc	1 111 21 is_stmt 0              ; triton_prefill_attention_aot.py:111:21
	s_lshl_b64 s[38:39], s[44:45], 1
	v_mov_b32_e32 v18, s39
	v_add_co_u32_e64 v34, s[38:39], s38, v80
	v_addc_co_u32_e64 v35, s[38:39], v79, v18, s[38:39]
	.loc	1 111 12                        ; triton_prefill_attention_aot.py:111:12
	global_load_ushort v18, v[34:35], off
.LBB0_70:                               ;   in Loop: Header=BB0_38 Depth=1
	.loc	1 0 12                          ; triton_prefill_attention_aot.py:0:12
	s_or_b64 exec, exec, s[46:47]
	.loc	1 111 12                        ; triton_prefill_attention_aot.py:111:12
	s_waitcnt lgkmcnt(0)
	s_barrier
	s_waitcnt vmcnt(0)
	ds_write_b16 v120, v19
	ds_write_b16 v120, v23 offset:2048
	ds_write_b16 v120, v27 offset:4096
	ds_write_b16 v120, v31 offset:6144
	ds_write_b16 v121, v21 offset:512
	ds_write_b16 v121, v25 offset:2560
	ds_write_b16 v121, v29 offset:4608
	ds_write_b16 v121, v33 offset:6656
	ds_write_b16 v122, v20 offset:1024
	ds_write_b16 v122, v24 offset:3072
	ds_write_b16 v122, v28 offset:5120
	ds_write_b16 v122, v32 offset:7168
	ds_write_b16 v123, v22 offset:1536
	ds_write_b16 v123, v26 offset:3584
	ds_write_b16 v123, v30 offset:5632
	ds_write_b16 v123, v18 offset:7680
	s_waitcnt lgkmcnt(0)
	s_barrier
	ds_read2st64_b64 v[164:167], v127 offset1:8
	ds_read2st64_b64 v[168:171], v128 offset1:8
	;; [unrolled: 1-line block ×5, first 2 shown]
	.loc	1 88 26 is_stmt 1               ; triton_prefill_attention_aot.py:88:26
	v_add_u32_e32 v143, s49, v118
	v_add_u32_e32 v144, 1, v143
	.loc	1 116 23                        ; triton_prefill_attention_aot.py:116:23
	s_waitcnt lgkmcnt(4)
	v_mfma_f32_32x32x8f16 v[34:49], v[164:165], v[148:149], 0
	.loc	1 91 23                         ; triton_prefill_attention_aot.py:91:23
	v_cmp_gt_i32_e64 s[38:39], s16, v143
	.loc	1 88 26                         ; triton_prefill_attention_aot.py:88:26
	v_add_u32_e32 v145, 2, v143
	v_add_u32_e32 v146, 3, v143
	;; [unrolled: 1-line block ×14, first 2 shown]
	.loc	1 116 23                        ; triton_prefill_attention_aot.py:116:23
	v_mfma_f32_32x32x8f16 v[18:33], v[166:167], v[148:149], 0
	.loc	1 111 12                        ; triton_prefill_attention_aot.py:111:12
	ds_read2st64_b64 v[164:167], v132 offset1:8
	ds_read2st64_b64 v[184:187], v133 offset1:8
	;; [unrolled: 1-line block ×3, first 2 shown]
	.loc	1 88 26                         ; triton_prefill_attention_aot.py:88:26
	v_add_u32_e32 v204, 32, v143
	v_add_u32_e32 v205, 33, v143
	;; [unrolled: 1-line block ×14, first 2 shown]
	.loc	1 116 23                        ; triton_prefill_attention_aot.py:116:23
	s_waitcnt lgkmcnt(6)
	v_mfma_f32_32x32x8f16 v[34:49], v[168:169], v[150:151], v[34:49]
	.loc	1 88 26                         ; triton_prefill_attention_aot.py:88:26
	v_add_u32_e32 v218, 58, v143
	v_add_u32_e32 v219, 59, v143
	.loc	1 127 20                        ; triton_prefill_attention_aot.py:127:20
	s_waitcnt lgkmcnt(0)
	s_barrier
	.loc	1 130 21                        ; triton_prefill_attention_aot.py:130:21
	s_ashr_i32 s43, s42, 31
	.loc	1 116 23                        ; triton_prefill_attention_aot.py:116:23
	v_mfma_f32_32x32x8f16 v[34:49], v[172:173], v[152:153], v[34:49]
	v_mfma_f32_32x32x8f16 v[18:33], v[170:171], v[150:151], v[18:33]
	;; [unrolled: 1-line block ×12, first 2 shown]
	.loc	1 117 33                        ; triton_prefill_attention_aot.py:117:33
	s_nop 15
	s_nop 1
	v_mul_f32_e32 v34, s12, v34
	v_mul_f32_e32 v35, s12, v35
	.loc	1 117 43 is_stmt 0              ; triton_prefill_attention_aot.py:117:43
	v_cndmask_b32_e64 v34, v141, v34, s[38:39]
	.loc	1 91 23 is_stmt 1               ; triton_prefill_attention_aot.py:91:23
	v_cmp_gt_i32_e64 s[38:39], s16, v144
	.loc	1 117 33                        ; triton_prefill_attention_aot.py:117:33
	v_mul_f32_e32 v36, s12, v36
	.loc	1 117 43 is_stmt 0              ; triton_prefill_attention_aot.py:117:43
	v_cndmask_b32_e64 v35, v141, v35, s[38:39]
	.loc	1 91 23 is_stmt 1               ; triton_prefill_attention_aot.py:91:23
	v_cmp_gt_i32_e64 s[38:39], s16, v145
	.loc	1 117 33                        ; triton_prefill_attention_aot.py:117:33
	;; [unrolled: 6-line block ×4, first 2 shown]
	v_mul_f32_e32 v39, s12, v39
	.loc	1 117 43 is_stmt 0              ; triton_prefill_attention_aot.py:117:43
	v_cndmask_b32_e64 v38, v141, v38, s[38:39]
	.loc	1 116 23 is_stmt 1              ; triton_prefill_attention_aot.py:116:23
	v_mfma_f32_32x32x8f16 v[18:33], v[190:191], v[162:163], v[18:33]
	.loc	1 91 23                         ; triton_prefill_attention_aot.py:91:23
	v_cmp_gt_i32_e64 s[38:39], s16, v193
	.loc	1 117 33                        ; triton_prefill_attention_aot.py:117:33
	v_mul_f32_e32 v40, s12, v40
	.loc	1 117 43 is_stmt 0              ; triton_prefill_attention_aot.py:117:43
	v_cndmask_b32_e64 v39, v141, v39, s[38:39]
	.loc	1 91 23 is_stmt 1               ; triton_prefill_attention_aot.py:91:23
	v_cmp_gt_i32_e64 s[38:39], s16, v194
	.loc	1 117 33                        ; triton_prefill_attention_aot.py:117:33
	v_mul_f32_e32 v41, s12, v41
	.loc	1 117 43 is_stmt 0              ; triton_prefill_attention_aot.py:117:43
	v_cndmask_b32_e64 v40, v141, v40, s[38:39]
	.loc	1 91 23 is_stmt 1               ; triton_prefill_attention_aot.py:91:23
	;; [unrolled: 6-line block ×13, first 2 shown]
	v_cmp_gt_i32_e64 s[38:39], s16, v206
.Ltmp4:
	.loc	2 170 27                        ; standard.py:170:27 @[ standard.py:191:40 @[ triton_prefill_attention_aot.py:118:42 ] ]
	v_max_f32_e32 v18, v34, v35
.Ltmp5:
	.loc	1 117 33                        ; triton_prefill_attention_aot.py:117:33
	v_mul_f32_e32 v21, s12, v21
	.loc	1 117 43 is_stmt 0              ; triton_prefill_attention_aot.py:117:43
	v_cndmask_b32_e64 v20, v141, v20, s[38:39]
	.loc	1 91 23 is_stmt 1               ; triton_prefill_attention_aot.py:91:23
	v_cmp_gt_i32_e64 s[38:39], s16, v207
.Ltmp6:
	.loc	2 170 27                        ; standard.py:170:27 @[ standard.py:191:40 @[ triton_prefill_attention_aot.py:118:42 ] ]
	v_max3_f32 v18, v18, v36, v37
.Ltmp7:
	.loc	1 117 33                        ; triton_prefill_attention_aot.py:117:33
	v_mul_f32_e32 v22, s12, v22
	.loc	1 117 43 is_stmt 0              ; triton_prefill_attention_aot.py:117:43
	v_cndmask_b32_e64 v21, v141, v21, s[38:39]
	.loc	1 91 23 is_stmt 1               ; triton_prefill_attention_aot.py:91:23
	v_cmp_gt_i32_e64 s[38:39], s16, v208
.Ltmp8:
	.loc	2 170 27                        ; standard.py:170:27 @[ standard.py:191:40 @[ triton_prefill_attention_aot.py:118:42 ] ]
	v_max3_f32 v18, v18, v38, v39
.Ltmp9:
	.loc	1 117 33                        ; triton_prefill_attention_aot.py:117:33
	v_mul_f32_e32 v23, s12, v23
	.loc	1 117 43 is_stmt 0              ; triton_prefill_attention_aot.py:117:43
	v_cndmask_b32_e64 v22, v141, v22, s[38:39]
	.loc	1 91 23 is_stmt 1               ; triton_prefill_attention_aot.py:91:23
	v_cmp_gt_i32_e64 s[38:39], s16, v209
.Ltmp10:
	.loc	2 170 27                        ; standard.py:170:27 @[ standard.py:191:40 @[ triton_prefill_attention_aot.py:118:42 ] ]
	v_max3_f32 v18, v18, v40, v41
.Ltmp11:
	.loc	1 117 33                        ; triton_prefill_attention_aot.py:117:33
	v_mul_f32_e32 v24, s12, v24
	.loc	1 117 43 is_stmt 0              ; triton_prefill_attention_aot.py:117:43
	v_cndmask_b32_e64 v23, v141, v23, s[38:39]
	.loc	1 91 23 is_stmt 1               ; triton_prefill_attention_aot.py:91:23
	v_cmp_gt_i32_e64 s[38:39], s16, v210
.Ltmp12:
	.loc	2 170 27                        ; standard.py:170:27 @[ standard.py:191:40 @[ triton_prefill_attention_aot.py:118:42 ] ]
	v_max3_f32 v18, v18, v42, v43
.Ltmp13:
	.loc	1 117 33                        ; triton_prefill_attention_aot.py:117:33
	v_mul_f32_e32 v25, s12, v25
	.loc	1 117 43 is_stmt 0              ; triton_prefill_attention_aot.py:117:43
	v_cndmask_b32_e64 v24, v141, v24, s[38:39]
	.loc	1 91 23 is_stmt 1               ; triton_prefill_attention_aot.py:91:23
	v_cmp_gt_i32_e64 s[38:39], s16, v211
.Ltmp14:
	.loc	2 170 27                        ; standard.py:170:27 @[ standard.py:191:40 @[ triton_prefill_attention_aot.py:118:42 ] ]
	v_max3_f32 v18, v18, v44, v45
.Ltmp15:
	.loc	1 117 33                        ; triton_prefill_attention_aot.py:117:33
	v_mul_f32_e32 v26, s12, v26
	.loc	1 117 43 is_stmt 0              ; triton_prefill_attention_aot.py:117:43
	v_cndmask_b32_e64 v25, v141, v25, s[38:39]
	.loc	1 91 23 is_stmt 1               ; triton_prefill_attention_aot.py:91:23
	v_cmp_gt_i32_e64 s[38:39], s16, v212
.Ltmp16:
	.loc	2 170 27                        ; standard.py:170:27 @[ standard.py:191:40 @[ triton_prefill_attention_aot.py:118:42 ] ]
	v_max3_f32 v18, v18, v46, v47
.Ltmp17:
	.loc	1 117 33                        ; triton_prefill_attention_aot.py:117:33
	v_mul_f32_e32 v27, s12, v27
	.loc	1 117 43 is_stmt 0              ; triton_prefill_attention_aot.py:117:43
	v_cndmask_b32_e64 v26, v141, v26, s[38:39]
	.loc	1 91 23 is_stmt 1               ; triton_prefill_attention_aot.py:91:23
	v_cmp_gt_i32_e64 s[38:39], s16, v213
.Ltmp18:
	.loc	2 170 27                        ; standard.py:170:27 @[ standard.py:191:40 @[ triton_prefill_attention_aot.py:118:42 ] ]
	v_max3_f32 v18, v18, v48, v49
.Ltmp19:
	.loc	1 117 33                        ; triton_prefill_attention_aot.py:117:33
	v_mul_f32_e32 v28, s12, v28
	.loc	1 117 43 is_stmt 0              ; triton_prefill_attention_aot.py:117:43
	v_cndmask_b32_e64 v27, v141, v27, s[38:39]
	.loc	1 91 23 is_stmt 1               ; triton_prefill_attention_aot.py:91:23
	v_cmp_gt_i32_e64 s[38:39], s16, v214
.Ltmp20:
	.loc	2 170 27                        ; standard.py:170:27 @[ standard.py:191:40 @[ triton_prefill_attention_aot.py:118:42 ] ]
	v_max3_f32 v18, v18, v143, v19
.Ltmp21:
	.loc	1 117 33                        ; triton_prefill_attention_aot.py:117:33
	v_mul_f32_e32 v29, s12, v29
	.loc	1 117 43 is_stmt 0              ; triton_prefill_attention_aot.py:117:43
	v_cndmask_b32_e64 v28, v141, v28, s[38:39]
	.loc	1 91 23 is_stmt 1               ; triton_prefill_attention_aot.py:91:23
	v_cmp_gt_i32_e64 s[38:39], s16, v215
.Ltmp22:
	.loc	2 170 27                        ; standard.py:170:27 @[ standard.py:191:40 @[ triton_prefill_attention_aot.py:118:42 ] ]
	v_max3_f32 v18, v18, v20, v21
.Ltmp23:
	.loc	1 117 33                        ; triton_prefill_attention_aot.py:117:33
	v_mul_f32_e32 v30, s12, v30
	.loc	1 117 43 is_stmt 0              ; triton_prefill_attention_aot.py:117:43
	v_cndmask_b32_e64 v29, v141, v29, s[38:39]
	.loc	1 91 23 is_stmt 1               ; triton_prefill_attention_aot.py:91:23
	v_cmp_gt_i32_e64 s[38:39], s16, v216
.Ltmp24:
	.loc	2 170 27                        ; standard.py:170:27 @[ standard.py:191:40 @[ triton_prefill_attention_aot.py:118:42 ] ]
	v_max3_f32 v18, v18, v22, v23
.Ltmp25:
	.loc	1 117 33                        ; triton_prefill_attention_aot.py:117:33
	v_mul_f32_e32 v31, s12, v31
	.loc	1 117 43 is_stmt 0              ; triton_prefill_attention_aot.py:117:43
	v_cndmask_b32_e64 v30, v141, v30, s[38:39]
	.loc	1 91 23 is_stmt 1               ; triton_prefill_attention_aot.py:91:23
	v_cmp_gt_i32_e64 s[38:39], s16, v217
.Ltmp26:
	.loc	2 170 27                        ; standard.py:170:27 @[ standard.py:191:40 @[ triton_prefill_attention_aot.py:118:42 ] ]
	v_max3_f32 v18, v18, v24, v25
.Ltmp27:
	.loc	1 117 33                        ; triton_prefill_attention_aot.py:117:33
	v_mul_f32_e32 v32, s12, v32
	.loc	1 117 43 is_stmt 0              ; triton_prefill_attention_aot.py:117:43
	v_cndmask_b32_e64 v31, v141, v31, s[38:39]
	.loc	1 91 23 is_stmt 1               ; triton_prefill_attention_aot.py:91:23
	v_cmp_gt_i32_e64 s[38:39], s16, v218
.Ltmp28:
	.loc	2 170 27                        ; standard.py:170:27 @[ standard.py:191:40 @[ triton_prefill_attention_aot.py:118:42 ] ]
	v_max3_f32 v18, v18, v26, v27
.Ltmp29:
	.loc	1 117 33                        ; triton_prefill_attention_aot.py:117:33
	v_mul_f32_e32 v33, s12, v33
	.loc	1 117 43 is_stmt 0              ; triton_prefill_attention_aot.py:117:43
	v_cndmask_b32_e64 v32, v141, v32, s[38:39]
	.loc	1 91 23 is_stmt 1               ; triton_prefill_attention_aot.py:91:23
	v_cmp_gt_i32_e64 s[38:39], s16, v219
.Ltmp30:
	.loc	2 170 27                        ; standard.py:170:27 @[ standard.py:191:40 @[ triton_prefill_attention_aot.py:118:42 ] ]
	v_max3_f32 v18, v18, v28, v29
.Ltmp31:
	.loc	1 117 43                        ; triton_prefill_attention_aot.py:117:43
	v_cndmask_b32_e64 v33, v141, v33, s[38:39]
.Ltmp32:
	.loc	2 170 27                        ; standard.py:170:27 @[ standard.py:191:40 @[ triton_prefill_attention_aot.py:118:42 ] ]
	v_max3_f32 v18, v18, v30, v31
	v_max3_f32 v18, v18, v32, v33
.Ltmp33:
	.loc	2 191 40                        ; standard.py:191:40 @[ triton_prefill_attention_aot.py:118:42 ]
	ds_bpermute_b32 v144, v126, v18
.Ltmp34:
	.loc	1 118 31                        ; triton_prefill_attention_aot.py:118:31
	s_waitcnt lgkmcnt(0)
	v_max3_f32 v18, v0, v18, v144
	.loc	1 119 14                        ; triton_prefill_attention_aot.py:119:14
	v_sub_f32_e32 v34, v34, v18
	v_sub_f32_e32 v35, v35, v18
	;; [unrolled: 1-line block ×5, first 2 shown]
	.loc	1 120 25                        ; triton_prefill_attention_aot.py:120:25
	v_exp_f32_e32 v22, v34
	v_exp_f32_e32 v23, v35
	.loc	1 119 14                        ; triton_prefill_attention_aot.py:119:14
	v_sub_f32_e32 v37, v37, v18
	v_sub_f32_e32 v146, v24, v18
	.loc	1 120 25                        ; triton_prefill_attention_aot.py:120:25
	v_exp_f32_e32 v24, v36
	.loc	1 119 14                        ; triton_prefill_attention_aot.py:119:14
	v_sub_f32_e32 v38, v38, v18
	v_sub_f32_e32 v164, v25, v18
	.loc	1 120 25                        ; triton_prefill_attention_aot.py:120:25
	v_exp_f32_e32 v25, v37
	.loc	1 119 14                        ; triton_prefill_attention_aot.py:119:14
	v_sub_f32_e32 v39, v39, v18
	v_sub_f32_e32 v19, v19, v18
	;; [unrolled: 1-line block ×3, first 2 shown]
	.loc	1 120 25                        ; triton_prefill_attention_aot.py:120:25
	v_exp_f32_e32 v26, v38
	.loc	1 119 14                        ; triton_prefill_attention_aot.py:119:14
	v_sub_f32_e32 v40, v40, v18
	v_sub_f32_e32 v166, v27, v18
	.loc	1 120 25                        ; triton_prefill_attention_aot.py:120:25
	v_exp_f32_e32 v27, v39
	v_exp_f32_e32 v39, v19
.Ltmp35:
	.loc	2 263 15                        ; standard.py:263:15 @[ standard.py:293:36 @[ triton_prefill_attention_aot.py:121:25 ] ]
	v_add_f32_e32 v19, v22, v23
.Ltmp36:
	.loc	1 119 14                        ; triton_prefill_attention_aot.py:119:14
	v_sub_f32_e32 v41, v41, v18
	v_sub_f32_e32 v167, v28, v18
	.loc	1 120 25                        ; triton_prefill_attention_aot.py:120:25
	v_exp_f32_e32 v28, v40
.Ltmp37:
	.loc	2 263 15                        ; standard.py:263:15 @[ standard.py:293:36 @[ triton_prefill_attention_aot.py:121:25 ] ]
	v_add_f32_e32 v19, v24, v19
.Ltmp38:
	.loc	1 119 14                        ; triton_prefill_attention_aot.py:119:14
	v_sub_f32_e32 v42, v42, v18
	v_sub_f32_e32 v168, v29, v18
	.loc	1 120 25                        ; triton_prefill_attention_aot.py:120:25
	v_exp_f32_e32 v29, v41
.Ltmp39:
	.loc	2 263 15                        ; standard.py:263:15 @[ standard.py:293:36 @[ triton_prefill_attention_aot.py:121:25 ] ]
	v_add_f32_e32 v19, v25, v19
.Ltmp40:
	.loc	1 119 14                        ; triton_prefill_attention_aot.py:119:14
	v_sub_f32_e32 v43, v43, v18
	v_sub_f32_e32 v169, v30, v18
	.loc	1 120 25                        ; triton_prefill_attention_aot.py:120:25
	v_exp_f32_e32 v30, v42
.Ltmp41:
	.loc	2 263 15                        ; standard.py:263:15 @[ standard.py:293:36 @[ triton_prefill_attention_aot.py:121:25 ] ]
	v_add_f32_e32 v19, v26, v19
.Ltmp42:
	.loc	1 119 14                        ; triton_prefill_attention_aot.py:119:14
	v_sub_f32_e32 v44, v44, v18
	v_sub_f32_e32 v170, v31, v18
	.loc	1 120 25                        ; triton_prefill_attention_aot.py:120:25
	v_exp_f32_e32 v31, v43
.Ltmp43:
	.loc	2 263 15                        ; standard.py:263:15 @[ standard.py:293:36 @[ triton_prefill_attention_aot.py:121:25 ] ]
	v_add_f32_e32 v19, v27, v19
.Ltmp44:
	.loc	1 119 14                        ; triton_prefill_attention_aot.py:119:14
	v_sub_f32_e32 v45, v45, v18
	v_sub_f32_e32 v171, v32, v18
	.loc	1 120 25                        ; triton_prefill_attention_aot.py:120:25
	v_exp_f32_e32 v32, v44
.Ltmp45:
	.loc	2 263 15                        ; standard.py:263:15 @[ standard.py:293:36 @[ triton_prefill_attention_aot.py:121:25 ] ]
	v_add_f32_e32 v19, v28, v19
.Ltmp46:
	.loc	1 119 14                        ; triton_prefill_attention_aot.py:119:14
	v_sub_f32_e32 v46, v46, v18
	v_sub_f32_e32 v172, v33, v18
	.loc	1 120 25                        ; triton_prefill_attention_aot.py:120:25
	v_exp_f32_e32 v33, v45
.Ltmp47:
	.loc	2 263 15                        ; standard.py:263:15 @[ standard.py:293:36 @[ triton_prefill_attention_aot.py:121:25 ] ]
	v_add_f32_e32 v19, v29, v19
.Ltmp48:
	.loc	1 119 14                        ; triton_prefill_attention_aot.py:119:14
	v_sub_f32_e32 v47, v47, v18
	.loc	1 120 25                        ; triton_prefill_attention_aot.py:120:25
	v_exp_f32_e32 v34, v46
.Ltmp49:
	.loc	2 263 15                        ; standard.py:263:15 @[ standard.py:293:36 @[ triton_prefill_attention_aot.py:121:25 ] ]
	v_add_f32_e32 v19, v30, v19
.Ltmp50:
	.loc	1 119 14                        ; triton_prefill_attention_aot.py:119:14
	v_sub_f32_e32 v48, v48, v18
	.loc	1 120 25                        ; triton_prefill_attention_aot.py:120:25
	v_exp_f32_e32 v35, v47
.Ltmp51:
	.loc	2 263 15                        ; standard.py:263:15 @[ standard.py:293:36 @[ triton_prefill_attention_aot.py:121:25 ] ]
	v_add_f32_e32 v19, v31, v19
.Ltmp52:
	.loc	1 119 14                        ; triton_prefill_attention_aot.py:119:14
	v_sub_f32_e32 v49, v49, v18
	.loc	1 120 25                        ; triton_prefill_attention_aot.py:120:25
	v_exp_f32_e32 v36, v48
.Ltmp53:
	.loc	2 263 15                        ; standard.py:263:15 @[ standard.py:293:36 @[ triton_prefill_attention_aot.py:121:25 ] ]
	v_add_f32_e32 v19, v32, v19
.Ltmp54:
	.loc	1 119 14                        ; triton_prefill_attention_aot.py:119:14
	v_sub_f32_e32 v143, v143, v18
	.loc	1 120 25                        ; triton_prefill_attention_aot.py:120:25
	v_exp_f32_e32 v37, v49
.Ltmp55:
	.loc	2 263 15                        ; standard.py:263:15 @[ standard.py:293:36 @[ triton_prefill_attention_aot.py:121:25 ] ]
	v_add_f32_e32 v19, v33, v19
.Ltmp56:
	.loc	1 120 25                        ; triton_prefill_attention_aot.py:120:25
	v_exp_f32_e32 v38, v143
.Ltmp57:
	.loc	2 263 15                        ; standard.py:263:15 @[ standard.py:293:36 @[ triton_prefill_attention_aot.py:121:25 ] ]
	v_add_f32_e32 v19, v34, v19
.Ltmp58:
	.loc	1 119 14                        ; triton_prefill_attention_aot.py:119:14
	v_sub_f32_e32 v20, v20, v18
.Ltmp59:
	.loc	2 263 15                        ; standard.py:263:15 @[ standard.py:293:36 @[ triton_prefill_attention_aot.py:121:25 ] ]
	v_add_f32_e32 v19, v35, v19
.Ltmp60:
	.loc	1 119 14                        ; triton_prefill_attention_aot.py:119:14
	v_sub_f32_e32 v21, v21, v18
	.loc	1 120 25                        ; triton_prefill_attention_aot.py:120:25
	v_exp_f32_e32 v40, v20
.Ltmp61:
	.loc	2 263 15                        ; standard.py:263:15 @[ standard.py:293:36 @[ triton_prefill_attention_aot.py:121:25 ] ]
	v_add_f32_e32 v19, v36, v19
.Ltmp62:
	.loc	1 120 25                        ; triton_prefill_attention_aot.py:120:25
	v_exp_f32_e32 v41, v21
.Ltmp63:
	.loc	2 263 15                        ; standard.py:263:15 @[ standard.py:293:36 @[ triton_prefill_attention_aot.py:121:25 ] ]
	v_add_f32_e32 v19, v37, v19
.Ltmp64:
	.loc	1 120 25                        ; triton_prefill_attention_aot.py:120:25
	v_exp_f32_e32 v42, v144
.Ltmp65:
	.loc	2 263 15                        ; standard.py:263:15 @[ standard.py:293:36 @[ triton_prefill_attention_aot.py:121:25 ] ]
	v_add_f32_e32 v19, v38, v19
.Ltmp66:
	.loc	1 120 25                        ; triton_prefill_attention_aot.py:120:25
	v_exp_f32_e32 v43, v145
.Ltmp67:
	.loc	2 263 15                        ; standard.py:263:15 @[ standard.py:293:36 @[ triton_prefill_attention_aot.py:121:25 ] ]
	v_add_f32_e32 v19, v39, v19
.Ltmp68:
	.loc	1 120 25                        ; triton_prefill_attention_aot.py:120:25
	v_exp_f32_e32 v44, v146
.Ltmp69:
	.loc	2 263 15                        ; standard.py:263:15 @[ standard.py:293:36 @[ triton_prefill_attention_aot.py:121:25 ] ]
	v_add_f32_e32 v19, v40, v19
.Ltmp70:
	.loc	1 120 25                        ; triton_prefill_attention_aot.py:120:25
	v_exp_f32_e32 v45, v164
.Ltmp71:
	.loc	2 263 15                        ; standard.py:263:15 @[ standard.py:293:36 @[ triton_prefill_attention_aot.py:121:25 ] ]
	v_add_f32_e32 v19, v41, v19
.Ltmp72:
	.loc	1 120 25                        ; triton_prefill_attention_aot.py:120:25
	v_exp_f32_e32 v46, v165
.Ltmp73:
	.loc	2 263 15                        ; standard.py:263:15 @[ standard.py:293:36 @[ triton_prefill_attention_aot.py:121:25 ] ]
	v_add_f32_e32 v19, v42, v19
.Ltmp74:
	.loc	1 120 25                        ; triton_prefill_attention_aot.py:120:25
	v_exp_f32_e32 v47, v166
.Ltmp75:
	.loc	2 263 15                        ; standard.py:263:15 @[ standard.py:293:36 @[ triton_prefill_attention_aot.py:121:25 ] ]
	v_add_f32_e32 v19, v43, v19
.Ltmp76:
	.loc	1 120 25                        ; triton_prefill_attention_aot.py:120:25
	v_exp_f32_e32 v48, v167
.Ltmp77:
	.loc	2 263 15                        ; standard.py:263:15 @[ standard.py:293:36 @[ triton_prefill_attention_aot.py:121:25 ] ]
	v_add_f32_e32 v19, v44, v19
.Ltmp78:
	.loc	1 120 25                        ; triton_prefill_attention_aot.py:120:25
	v_exp_f32_e32 v49, v168
.Ltmp79:
	.loc	2 263 15                        ; standard.py:263:15 @[ standard.py:293:36 @[ triton_prefill_attention_aot.py:121:25 ] ]
	v_add_f32_e32 v19, v45, v19
.Ltmp80:
	.loc	1 120 25                        ; triton_prefill_attention_aot.py:120:25
	v_exp_f32_e32 v143, v169
.Ltmp81:
	.loc	2 263 15                        ; standard.py:263:15 @[ standard.py:293:36 @[ triton_prefill_attention_aot.py:121:25 ] ]
	v_add_f32_e32 v19, v46, v19
.Ltmp82:
	.loc	1 120 25                        ; triton_prefill_attention_aot.py:120:25
	v_exp_f32_e32 v144, v170
.Ltmp83:
	.loc	2 263 15                        ; standard.py:263:15 @[ standard.py:293:36 @[ triton_prefill_attention_aot.py:121:25 ] ]
	v_add_f32_e32 v19, v47, v19
.Ltmp84:
	.loc	1 120 25                        ; triton_prefill_attention_aot.py:120:25
	v_exp_f32_e32 v145, v171
.Ltmp85:
	.loc	2 263 15                        ; standard.py:263:15 @[ standard.py:293:36 @[ triton_prefill_attention_aot.py:121:25 ] ]
	v_add_f32_e32 v19, v48, v19
.Ltmp86:
	.loc	1 124 35                        ; triton_prefill_attention_aot.py:124:35
	v_sub_f32_e32 v0, v0, v18
	.loc	1 120 25                        ; triton_prefill_attention_aot.py:120:25
	v_exp_f32_e32 v146, v172
.Ltmp87:
	.loc	2 263 15                        ; standard.py:263:15 @[ standard.py:293:36 @[ triton_prefill_attention_aot.py:121:25 ] ]
	v_add_f32_e32 v19, v49, v19
.Ltmp88:
	.loc	1 124 29                        ; triton_prefill_attention_aot.py:124:29
	v_exp_f32_e32 v21, v0
.Ltmp89:
	.loc	2 263 15                        ; standard.py:263:15 @[ standard.py:293:36 @[ triton_prefill_attention_aot.py:121:25 ] ]
	v_add_f32_e32 v19, v143, v19
	v_add_f32_e32 v19, v144, v19
	;; [unrolled: 1-line block ×3, first 2 shown]
.Ltmp90:
	.loc	1 127 20                        ; triton_prefill_attention_aot.py:127:20
	v_add_u32_e32 v0, v140, v117
.Ltmp91:
	.loc	2 263 15                        ; standard.py:263:15 @[ standard.py:293:36 @[ triton_prefill_attention_aot.py:121:25 ] ]
	v_add_f32_e32 v19, v146, v19
.Ltmp92:
	.loc	1 127 20                        ; triton_prefill_attention_aot.py:127:20
	ds_write_b32 v0, v21
	v_add_u32_e32 v0, v140, v119
.Ltmp93:
	.loc	2 293 36                        ; standard.py:293:36 @[ triton_prefill_attention_aot.py:121:25 ]
	ds_bpermute_b32 v20, v126, v19
.Ltmp94:
	.loc	1 127 20                        ; triton_prefill_attention_aot.py:127:20
	s_waitcnt lgkmcnt(0)
	s_barrier
	ds_read_b32 v0, v0
	.loc	1 130 12                        ; triton_prefill_attention_aot.py:130:12
	s_and_saveexec_b64 s[38:39], vcc
	s_cbranch_execz .LBB0_72
; %bb.71:                               ;   in Loop: Header=BB0_38 Depth=1
	.loc	1 0 12 is_stmt 0                ; triton_prefill_attention_aot.py:0:12
	s_lshl_b64 s[46:47], s[42:43], 1
	v_mov_b32_e32 v147, s47
	v_add_co_u32_e32 v164, vcc, s46, v82
	v_addc_co_u32_e32 v165, vcc, v81, v147, vcc
	.loc	1 130 12                        ; triton_prefill_attention_aot.py:130:12
	global_load_ushort v147, v[164:165], off
.LBB0_72:                               ;   in Loop: Header=BB0_38 Depth=1
	.loc	1 0 12                          ; triton_prefill_attention_aot.py:0:12
	s_or_b64 exec, exec, s[38:39]
	v_mov_b32_e32 v164, 0
	v_mov_b32_e32 v165, 0
	.loc	1 130 12                        ; triton_prefill_attention_aot.py:130:12
	s_and_saveexec_b64 s[38:39], s[0:1]
	s_cbranch_execz .LBB0_74
; %bb.73:                               ;   in Loop: Header=BB0_38 Depth=1
	.loc	1 130 21                        ; triton_prefill_attention_aot.py:130:21
	s_lshl_b64 s[0:1], s[42:43], 1
	v_mov_b32_e32 v165, s1
	v_add_co_u32_e32 v166, vcc, s0, v84
	v_addc_co_u32_e32 v167, vcc, v83, v165, vcc
	.loc	1 130 12                        ; triton_prefill_attention_aot.py:130:12
	global_load_ushort v165, v[166:167], off
.LBB0_74:                               ;   in Loop: Header=BB0_38 Depth=1
	.loc	1 0 12                          ; triton_prefill_attention_aot.py:0:12
	s_or_b64 exec, exec, s[38:39]
	.loc	1 130 12                        ; triton_prefill_attention_aot.py:130:12
	s_and_saveexec_b64 s[0:1], s[2:3]
	s_cbranch_execz .LBB0_76
; %bb.75:                               ;   in Loop: Header=BB0_38 Depth=1
	.loc	1 130 21                        ; triton_prefill_attention_aot.py:130:21
	s_lshl_b64 s[2:3], s[42:43], 1
	v_mov_b32_e32 v164, s3
	v_add_co_u32_e32 v166, vcc, s2, v86
	v_addc_co_u32_e32 v167, vcc, v85, v164, vcc
	.loc	1 130 12                        ; triton_prefill_attention_aot.py:130:12
	global_load_ushort v164, v[166:167], off
.LBB0_76:                               ;   in Loop: Header=BB0_38 Depth=1
	.loc	1 0 12                          ; triton_prefill_attention_aot.py:0:12
	s_or_b64 exec, exec, s[0:1]
	v_mov_b32_e32 v166, 0
	v_mov_b32_e32 v167, 0
	.loc	1 130 12                        ; triton_prefill_attention_aot.py:130:12
	s_and_saveexec_b64 s[0:1], s[6:7]
	s_cbranch_execz .LBB0_78
; %bb.77:                               ;   in Loop: Header=BB0_38 Depth=1
	.loc	1 130 21                        ; triton_prefill_attention_aot.py:130:21
	s_lshl_b64 s[2:3], s[42:43], 1
	v_mov_b32_e32 v167, s3
	v_add_co_u32_e32 v168, vcc, s2, v88
	v_addc_co_u32_e32 v169, vcc, v87, v167, vcc
	.loc	1 130 12                        ; triton_prefill_attention_aot.py:130:12
	global_load_ushort v167, v[168:169], off
.LBB0_78:                               ;   in Loop: Header=BB0_38 Depth=1
	.loc	1 0 12                          ; triton_prefill_attention_aot.py:0:12
	s_or_b64 exec, exec, s[0:1]
	.loc	1 130 12                        ; triton_prefill_attention_aot.py:130:12
	s_and_saveexec_b64 s[0:1], s[8:9]
	s_cbranch_execz .LBB0_80
; %bb.79:                               ;   in Loop: Header=BB0_38 Depth=1
	.loc	1 130 21                        ; triton_prefill_attention_aot.py:130:21
	s_lshl_b64 s[2:3], s[42:43], 1
	v_mov_b32_e32 v166, s3
	v_add_co_u32_e32 v168, vcc, s2, v90
	v_addc_co_u32_e32 v169, vcc, v89, v166, vcc
	.loc	1 130 12                        ; triton_prefill_attention_aot.py:130:12
	global_load_ushort v166, v[168:169], off
.LBB0_80:                               ;   in Loop: Header=BB0_38 Depth=1
	;; [unrolled: 30-line block ×6, first 2 shown]
	.loc	1 0 12                          ; triton_prefill_attention_aot.py:0:12
	s_or_b64 exec, exec, s[0:1]
	v_mov_b32_e32 v176, 0
	v_mov_b32_e32 v177, 0
	.loc	1 130 12                        ; triton_prefill_attention_aot.py:130:12
	s_and_saveexec_b64 s[0:1], s[26:27]
	s_cbranch_execnz .LBB0_99
; %bb.97:                               ;   in Loop: Header=BB0_38 Depth=1
	.loc	1 0 12                          ; triton_prefill_attention_aot.py:0:12
	s_or_b64 exec, exec, s[0:1]
	.loc	1 130 12                        ; triton_prefill_attention_aot.py:130:12
	s_and_saveexec_b64 s[0:1], s[28:29]
	s_cbranch_execnz .LBB0_100
.LBB0_98:                               ;   in Loop: Header=BB0_38 Depth=1
	.loc	1 0 12                          ; triton_prefill_attention_aot.py:0:12
	s_or_b64 exec, exec, s[0:1]
	v_mov_b32_e32 v178, 0
	.loc	1 130 12                        ; triton_prefill_attention_aot.py:130:12
	s_and_saveexec_b64 s[0:1], s[30:31]
	s_cbranch_execz .LBB0_37
	s_branch .LBB0_101
.LBB0_99:                               ;   in Loop: Header=BB0_38 Depth=1
	.loc	1 130 21                        ; triton_prefill_attention_aot.py:130:21
	s_lshl_b64 s[2:3], s[42:43], 1
	v_mov_b32_e32 v177, s3
	v_add_co_u32_e32 v178, vcc, s2, v108
	v_addc_co_u32_e32 v179, vcc, v107, v177, vcc
	.loc	1 130 12                        ; triton_prefill_attention_aot.py:130:12
	global_load_ushort v177, v[178:179], off
	s_or_b64 exec, exec, s[0:1]
	s_and_saveexec_b64 s[0:1], s[28:29]
	s_cbranch_execz .LBB0_98
.LBB0_100:                              ;   in Loop: Header=BB0_38 Depth=1
	.loc	1 130 21                        ; triton_prefill_attention_aot.py:130:21
	s_lshl_b64 s[2:3], s[42:43], 1
	v_mov_b32_e32 v176, s3
	v_add_co_u32_e32 v178, vcc, s2, v110
	v_addc_co_u32_e32 v179, vcc, v109, v176, vcc
	.loc	1 130 12                        ; triton_prefill_attention_aot.py:130:12
	global_load_ushort v176, v[178:179], off
	s_or_b64 exec, exec, s[0:1]
	v_mov_b32_e32 v178, 0
	s_and_saveexec_b64 s[0:1], s[30:31]
	s_cbranch_execz .LBB0_37
.LBB0_101:                              ;   in Loop: Header=BB0_38 Depth=1
	.loc	1 130 21                        ; triton_prefill_attention_aot.py:130:21
	s_lshl_b64 s[2:3], s[42:43], 1
	v_mov_b32_e32 v179, s3
	v_add_co_u32_e32 v178, vcc, s2, v112
	v_addc_co_u32_e32 v179, vcc, v111, v179, vcc
	.loc	1 130 12                        ; triton_prefill_attention_aot.py:130:12
	global_load_ushort v178, v[178:179], off
	s_branch .LBB0_37
.LBB0_102:                              ; %Flow242
	.loc	1 0 12                          ; triton_prefill_attention_aot.py:0:12
	s_load_dwordx2 s[0:1], s[4:5], 0x50
	.loc	1 45 26 is_stmt 1               ; triton_prefill_attention_aot.py:45:26
	v_lshrrev_b32_e32 v0, 2, v119
	.loc	1 47 33                         ; triton_prefill_attention_aot.py:47:33
	v_or3_b32 v0, v115, v0, s33
	.loc	1 139 16                        ; triton_prefill_attention_aot.py:139:16
	v_add_u32_e32 v1, 0, v116
	.loc	1 60 32                         ; triton_prefill_attention_aot.py:60:32
	v_cmp_gt_i32_e32 vcc, s16, v0
	.loc	1 139 16                        ; triton_prefill_attention_aot.py:139:16
	v_add_u32_e32 v18, v1, v117
	s_waitcnt lgkmcnt(0)
	s_barrier
	ds_write_b32 v18, v22
	s_waitcnt lgkmcnt(0)
	s_barrier
	.loc	1 147 18                        ; triton_prefill_attention_aot.py:147:18
	s_and_saveexec_b64 s[2:3], vcc
	s_cbranch_execz .LBB0_104
; %bb.103:                              ; %.critedge
	.loc	1 139 16                        ; triton_prefill_attention_aot.py:139:16
	v_add_u32_e32 v1, v1, v119
	ds_read_b32 v24, v1
	.loc	1 45 26                         ; triton_prefill_attention_aot.py:45:26
	v_lshrrev_b32_e32 v1, 1, v114
	.loc	1 49 40                         ; triton_prefill_attention_aot.py:49:40
	v_add_u32_e32 v0, s13, v0
	.loc	1 45 26                         ; triton_prefill_attention_aot.py:45:26
	v_or_b32_e32 v1, v118, v1
	.loc	1 141 59                        ; triton_prefill_attention_aot.py:141:59
	v_mul_lo_u32 v0, v0, s0
	.loc	1 139 16                        ; triton_prefill_attention_aot.py:139:16
	s_waitcnt lgkmcnt(0)
	v_div_scale_f32 v18, s[2:3], v24, v24, v17
	v_rcp_f32_e32 v19, v18
	v_div_scale_f32 v20, vcc, v17, v24, v17
	.loc	1 142 21                        ; triton_prefill_attention_aot.py:142:21
	s_mul_i32 s0, s1, s17
	.loc	1 139 16                        ; triton_prefill_attention_aot.py:139:16
	v_fma_f32 v21, -v18, v19, 1.0
	v_fmac_f32_e32 v19, v21, v19
	v_mul_f32_e32 v21, v20, v19
	v_fma_f32 v22, -v18, v21, v20
	v_fmac_f32_e32 v21, v22, v19
	v_fma_f32 v18, -v18, v21, v20
	v_div_scale_f32 v20, s[2:3], v24, v24, v16
	v_rcp_f32_e32 v22, v20
	v_div_fmas_f32 v18, v18, v19, v21
	v_div_fixup_f32 v17, v18, v24, v17
	.loc	1 147 18                        ; triton_prefill_attention_aot.py:147:18
	v_cvt_f16_f32_e32 v25, v17
	.loc	1 139 16                        ; triton_prefill_attention_aot.py:139:16
	v_fma_f32 v17, -v20, v22, 1.0
	v_fmac_f32_e32 v22, v17, v22
	v_div_scale_f32 v17, vcc, v16, v24, v16
	v_mul_f32_e32 v18, v17, v22
	v_fma_f32 v19, -v20, v18, v17
	v_fmac_f32_e32 v18, v19, v22
	v_div_scale_f32 v19, s[2:3], v24, v24, v15
	v_fma_f32 v17, -v20, v18, v17
	v_rcp_f32_e32 v20, v19
	v_div_fmas_f32 v17, v17, v22, v18
	v_div_fixup_f32 v16, v17, v24, v16
	.loc	1 147 18                        ; triton_prefill_attention_aot.py:147:18
	v_cvt_f16_f32_e32 v26, v16
	.loc	1 139 16                        ; triton_prefill_attention_aot.py:139:16
	v_fma_f32 v16, -v19, v20, 1.0
	v_fmac_f32_e32 v20, v16, v20
	v_div_scale_f32 v16, vcc, v15, v24, v15
	v_mul_f32_e32 v17, v16, v20
	v_fma_f32 v18, -v19, v17, v16
	v_fmac_f32_e32 v17, v18, v20
	v_div_scale_f32 v18, s[2:3], v24, v24, v14
	v_fma_f32 v16, -v19, v17, v16
	;; [unrolled: 14-line block ×12, first 2 shown]
	v_rcp_f32_e32 v9, v8
	v_div_fmas_f32 v6, v6, v10, v7
	v_div_fixup_f32 v5, v6, v24, v5
	.loc	1 147 18                        ; triton_prefill_attention_aot.py:147:18
	v_cvt_f16_f32_e32 v37, v5
	.loc	1 139 16                        ; triton_prefill_attention_aot.py:139:16
	v_fma_f32 v5, -v8, v9, 1.0
	v_fmac_f32_e32 v9, v5, v9
	v_div_scale_f32 v5, vcc, v4, v24, v4
	v_mul_f32_e32 v6, v5, v9
	v_fma_f32 v7, -v8, v6, v5
	v_fmac_f32_e32 v6, v7, v9
	.loc	1 143 10                        ; triton_prefill_attention_aot.py:143:10
	v_add3_u32 v22, v0, s0, v1
	.loc	1 139 16                        ; triton_prefill_attention_aot.py:139:16
	v_fma_f32 v5, -v8, v6, v5
	.loc	1 143 10                        ; triton_prefill_attention_aot.py:143:10
	v_add_u32_e32 v0, 27, v22
	.loc	1 139 16                        ; triton_prefill_attention_aot.py:139:16
	v_div_fmas_f32 v5, v5, v9, v6
	.loc	1 145 21                        ; triton_prefill_attention_aot.py:145:21
	v_ashrrev_i32_e32 v1, 31, v0
	.loc	1 139 16                        ; triton_prefill_attention_aot.py:139:16
	v_div_fixup_f32 v4, v5, v24, v4
	.loc	1 145 21                        ; triton_prefill_attention_aot.py:145:21
	v_lshlrev_b64 v[0:1], 1, v[0:1]
	.loc	1 147 18                        ; triton_prefill_attention_aot.py:147:18
	v_cvt_f16_f32_e32 v38, v4
	.loc	1 145 21                        ; triton_prefill_attention_aot.py:145:21
	v_mov_b32_e32 v4, s41
	v_add_co_u32_e32 v0, vcc, s40, v0
	v_addc_co_u32_e32 v1, vcc, v4, v1, vcc
	.loc	1 143 10                        ; triton_prefill_attention_aot.py:143:10
	v_add_u32_e32 v4, 26, v22
	.loc	1 145 21                        ; triton_prefill_attention_aot.py:145:21
	v_ashrrev_i32_e32 v5, 31, v4
	v_lshlrev_b64 v[4:5], 1, v[4:5]
	v_mov_b32_e32 v6, s41
	v_add_co_u32_e32 v4, vcc, s40, v4
	v_addc_co_u32_e32 v5, vcc, v6, v5, vcc
	.loc	1 143 10                        ; triton_prefill_attention_aot.py:143:10
	v_add_u32_e32 v6, 25, v22
	.loc	1 145 21                        ; triton_prefill_attention_aot.py:145:21
	v_ashrrev_i32_e32 v7, 31, v6
	v_lshlrev_b64 v[6:7], 1, v[6:7]
	;; [unrolled: 8-line block ×8, first 2 shown]
	v_mov_b32_e32 v20, s41
	v_add_co_u32_e32 v18, vcc, s40, v18
	.loc	1 139 16                        ; triton_prefill_attention_aot.py:139:16
	v_div_scale_f32 v39, s[0:1], v24, v24, v2
	.loc	1 145 21                        ; triton_prefill_attention_aot.py:145:21
	v_addc_co_u32_e32 v19, vcc, v20, v19, vcc
	.loc	1 143 10                        ; triton_prefill_attention_aot.py:143:10
	v_add_u32_e32 v20, 10, v22
	.loc	1 139 16                        ; triton_prefill_attention_aot.py:139:16
	v_rcp_f32_e32 v40, v39
	.loc	1 145 21                        ; triton_prefill_attention_aot.py:145:21
	v_ashrrev_i32_e32 v21, 31, v20
	v_lshlrev_b64 v[20:21], 1, v[20:21]
	v_mov_b32_e32 v23, s41
	v_add_co_u32_e32 v20, vcc, s40, v20
	v_addc_co_u32_e32 v21, vcc, v23, v21, vcc
	.loc	1 139 16                        ; triton_prefill_attention_aot.py:139:16
	v_fma_f32 v42, -v39, v40, 1.0
	v_fmac_f32_e32 v40, v42, v40
	v_div_scale_f32 v42, vcc, v2, v24, v2
	v_mul_f32_e32 v43, v42, v40
	v_fma_f32 v44, -v39, v43, v42
	v_fmac_f32_e32 v43, v44, v40
	v_fma_f32 v39, -v39, v43, v42
	v_div_scale_f32 v42, s[0:1], v24, v24, v3
	v_rcp_f32_e32 v44, v42
	v_div_fmas_f32 v39, v39, v40, v43
	v_div_fixup_f32 v2, v39, v24, v2
	.loc	1 147 18                        ; triton_prefill_attention_aot.py:147:18
	v_cvt_f16_f32_e32 v39, v2
	.loc	1 139 16                        ; triton_prefill_attention_aot.py:139:16
	v_fma_f32 v2, -v42, v44, 1.0
	v_fmac_f32_e32 v44, v2, v44
	v_div_scale_f32 v2, vcc, v3, v24, v3
	v_mul_f32_e32 v40, v2, v44
	v_fma_f32 v43, -v42, v40, v2
	v_fmac_f32_e32 v40, v43, v44
	v_fma_f32 v2, -v42, v40, v2
	v_div_fmas_f32 v2, v2, v44, v40
	v_div_fixup_f32 v2, v2, v24, v3
	.loc	1 143 10                        ; triton_prefill_attention_aot.py:143:10
	v_add_u32_e32 v22, 9, v22
	.loc	1 147 18                        ; triton_prefill_attention_aot.py:147:18
	v_cvt_f16_f32_e32 v24, v2
	.loc	1 145 21                        ; triton_prefill_attention_aot.py:145:21
	v_ashrrev_i32_e32 v23, 31, v22
	v_lshlrev_b64 v[22:23], 1, v[22:23]
	v_mov_b32_e32 v41, s41
	v_add_co_u32_e32 v2, vcc, s40, v22
	v_addc_co_u32_e32 v3, vcc, v41, v23, vcc
	.loc	1 147 18                        ; triton_prefill_attention_aot.py:147:18
	v_pack_b32_f16 v23, v38, v37
	v_pack_b32_f16 v22, v39, v24
	global_store_dwordx2 v[2:3], v[22:23], off offset:-18
	v_pack_b32_f16 v22, v36, v35
	global_store_dword v[2:3], v22, off offset:-2
	global_store_short v[20:21], v34, off
	global_store_short v[18:19], v33, off
	;; [unrolled: 1-line block ×10, first 2 shown]
.LBB0_104:                              ; %.critedge28
	.loc	1 146 4                         ; triton_prefill_attention_aot.py:146:4
	s_endpgm
.Ltmp95:
	.section	.rodata,"a",@progbits
	.p2align	6, 0x0
	.amdhsa_kernel _fwd_kernel
		.amdhsa_group_segment_fixed_size 0
		.amdhsa_private_segment_fixed_size 0
		.amdhsa_kernarg_size 104
		.amdhsa_user_sgpr_count 16
		.amdhsa_user_sgpr_private_segment_buffer 1
		.amdhsa_user_sgpr_dispatch_ptr 0
		.amdhsa_user_sgpr_queue_ptr 0
		.amdhsa_user_sgpr_kernarg_segment_ptr 1
		.amdhsa_user_sgpr_dispatch_id 0
		.amdhsa_user_sgpr_flat_scratch_init 0
		.amdhsa_user_sgpr_kernarg_preload_length 10
		.amdhsa_user_sgpr_kernarg_preload_offset 0
		.amdhsa_user_sgpr_private_segment_size 0
		.amdhsa_uses_dynamic_stack 0
		.amdhsa_system_sgpr_private_segment_wavefront_offset 0
		.amdhsa_system_sgpr_workgroup_id_x 1
		.amdhsa_system_sgpr_workgroup_id_y 1
		.amdhsa_system_sgpr_workgroup_id_z 1
		.amdhsa_system_sgpr_workgroup_info 0
		.amdhsa_system_vgpr_workitem_id 0
		.amdhsa_next_free_vgpr 220
		.amdhsa_next_free_sgpr 53
		.amdhsa_accum_offset 220
		.amdhsa_reserve_vcc 1
		.amdhsa_reserve_flat_scratch 0
		.amdhsa_reserve_xnack_mask 1
		.amdhsa_float_round_mode_32 0
		.amdhsa_float_round_mode_16_64 0
		.amdhsa_float_denorm_mode_32 3
		.amdhsa_float_denorm_mode_16_64 3
		.amdhsa_dx10_clamp 1
		.amdhsa_ieee_mode 1
		.amdhsa_fp16_overflow 0
		.amdhsa_tg_split 0
		.amdhsa_exception_fp_ieee_invalid_op 0
		.amdhsa_exception_fp_denorm_src 0
		.amdhsa_exception_fp_ieee_div_zero 0
		.amdhsa_exception_fp_ieee_overflow 0
		.amdhsa_exception_fp_ieee_underflow 0
		.amdhsa_exception_fp_ieee_inexact 0
		.amdhsa_exception_int_div_zero 0
	.end_amdhsa_kernel
	.text
.Lfunc_end0:
	.size	_fwd_kernel, .Lfunc_end0-_fwd_kernel
	.cfi_endproc
                                        ; -- End function
	.set _fwd_kernel.num_vgpr, 220
	.set _fwd_kernel.num_agpr, 0
	.set _fwd_kernel.numbered_sgpr, 53
	.set _fwd_kernel.num_named_barrier, 0
	.set _fwd_kernel.private_seg_size, 0
	.set _fwd_kernel.uses_vcc, 1
	.set _fwd_kernel.uses_flat_scratch, 0
	.set _fwd_kernel.has_dyn_sized_stack, 0
	.set _fwd_kernel.has_recursion, 0
	.set _fwd_kernel.has_indirect_call, 0
	.section	.AMDGPU.csdata,"",@progbits
; Kernel info:
; codeLenInByte = 9892
; TotalNumSgprs: 57
; NumVgprs: 220
; NumAgprs: 0
; TotalNumVgprs: 220
; ScratchSize: 0
; MemoryBound: 0
; FloatMode: 240
; IeeeMode: 1
; LDSByteSize: 0 bytes/workgroup (compile time only)
; SGPRBlocks: 7
; VGPRBlocks: 27
; NumSGPRsForWavesPerEU: 57
; NumVGPRsForWavesPerEU: 220
; AccumOffset: 220
; Occupancy: 2
; WaveLimiterHint : 1
; COMPUTE_PGM_RSRC2:SCRATCH_EN: 0
; COMPUTE_PGM_RSRC2:USER_SGPR: 16
; COMPUTE_PGM_RSRC2:TRAP_HANDLER: 0
; COMPUTE_PGM_RSRC2:TGID_X_EN: 1
; COMPUTE_PGM_RSRC2:TGID_Y_EN: 1
; COMPUTE_PGM_RSRC2:TGID_Z_EN: 1
; COMPUTE_PGM_RSRC2:TIDIG_COMP_CNT: 0
; COMPUTE_PGM_RSRC3_GFX90A:ACCUM_OFFSET: 54
; COMPUTE_PGM_RSRC3_GFX90A:TG_SPLIT: 0
	.text
	.p2alignl 6, 3212836864
	.fill 256, 4, 3212836864
	.section	.AMDGPU.gpr_maximums,"",@progbits
	.set amdgpu.max_num_vgpr, 0
	.set amdgpu.max_num_agpr, 0
	.set amdgpu.max_num_sgpr, 0
	.set amdgpu.max_num_named_barrier, 0
	.text
	.section	.debug_abbrev,"",@progbits
	.byte	1                               ; Abbreviation Code
	.byte	17                              ; DW_TAG_compile_unit
	.byte	1                               ; DW_CHILDREN_yes
	.byte	37                              ; DW_AT_producer
	.byte	14                              ; DW_FORM_strp
	.byte	19                              ; DW_AT_language
	.byte	5                               ; DW_FORM_data2
	.byte	3                               ; DW_AT_name
	.byte	14                              ; DW_FORM_strp
	.byte	16                              ; DW_AT_stmt_list
	.byte	23                              ; DW_FORM_sec_offset
	.byte	27                              ; DW_AT_comp_dir
	.byte	14                              ; DW_FORM_strp
	.byte	17                              ; DW_AT_low_pc
	.byte	1                               ; DW_FORM_addr
	.byte	18                              ; DW_AT_high_pc
	.byte	6                               ; DW_FORM_data4
	.byte	0                               ; EOM(1)
	.byte	0                               ; EOM(2)
	.byte	2                               ; Abbreviation Code
	.byte	46                              ; DW_TAG_subprogram
	.byte	0                               ; DW_CHILDREN_no
	.byte	3                               ; DW_AT_name
	.byte	14                              ; DW_FORM_strp
	.byte	32                              ; DW_AT_inline
	.byte	11                              ; DW_FORM_data1
	.byte	0                               ; EOM(1)
	.byte	0                               ; EOM(2)
	.byte	3                               ; Abbreviation Code
	.byte	46                              ; DW_TAG_subprogram
	.byte	1                               ; DW_CHILDREN_yes
	.byte	17                              ; DW_AT_low_pc
	.byte	1                               ; DW_FORM_addr
	.byte	18                              ; DW_AT_high_pc
	.byte	6                               ; DW_FORM_data4
	.byte	49                              ; DW_AT_abstract_origin
	.byte	19                              ; DW_FORM_ref4
	.byte	0                               ; EOM(1)
	.byte	0                               ; EOM(2)
	.byte	4                               ; Abbreviation Code
	.byte	29                              ; DW_TAG_inlined_subroutine
	.byte	1                               ; DW_CHILDREN_yes
	.byte	49                              ; DW_AT_abstract_origin
	.byte	19                              ; DW_FORM_ref4
	.byte	85                              ; DW_AT_ranges
	.byte	23                              ; DW_FORM_sec_offset
	.byte	88                              ; DW_AT_call_file
	.byte	11                              ; DW_FORM_data1
	.byte	89                              ; DW_AT_call_line
	.byte	11                              ; DW_FORM_data1
	.byte	87                              ; DW_AT_call_column
	.byte	11                              ; DW_FORM_data1
	.byte	0                               ; EOM(1)
	.byte	0                               ; EOM(2)
	.byte	5                               ; Abbreviation Code
	.byte	29                              ; DW_TAG_inlined_subroutine
	.byte	0                               ; DW_CHILDREN_no
	.byte	49                              ; DW_AT_abstract_origin
	.byte	19                              ; DW_FORM_ref4
	.byte	85                              ; DW_AT_ranges
	.byte	23                              ; DW_FORM_sec_offset
	.byte	88                              ; DW_AT_call_file
	.byte	11                              ; DW_FORM_data1
	.byte	89                              ; DW_AT_call_line
	.byte	5                               ; DW_FORM_data2
	.byte	87                              ; DW_AT_call_column
	.byte	11                              ; DW_FORM_data1
	.byte	0                               ; EOM(1)
	.byte	0                               ; EOM(2)
	.byte	6                               ; Abbreviation Code
	.byte	29                              ; DW_TAG_inlined_subroutine
	.byte	0                               ; DW_CHILDREN_no
	.byte	49                              ; DW_AT_abstract_origin
	.byte	19                              ; DW_FORM_ref4
	.byte	85                              ; DW_AT_ranges
	.byte	23                              ; DW_FORM_sec_offset
	.byte	88                              ; DW_AT_call_file
	.byte	11                              ; DW_FORM_data1
	.byte	89                              ; DW_AT_call_line
	.byte	11                              ; DW_FORM_data1
	.byte	87                              ; DW_AT_call_column
	.byte	11                              ; DW_FORM_data1
	.byte	0                               ; EOM(1)
	.byte	0                               ; EOM(2)
	;; [unrolled: 1-line block ×3, first 2 shown]
	.section	.debug_info,"",@progbits
.Lcu_begin0:
	.long	.Ldebug_info_end0-.Ldebug_info_start0 ; Length of Unit
.Ldebug_info_start0:
	.short	4                               ; DWARF version number
	.long	.debug_abbrev                   ; Offset Into Abbrev. Section
	.byte	8                               ; Address Size (in bytes)
	.byte	1                               ; Abbrev [1] 0xb:0x6b DW_TAG_compile_unit
	.long	.Linfo_string0                  ; DW_AT_producer
	.short	2                               ; DW_AT_language
	.long	.Linfo_string1                  ; DW_AT_name
	.long	.Lline_table_start0             ; DW_AT_stmt_list
	.long	.Linfo_string2                  ; DW_AT_comp_dir
	.quad	.Lfunc_begin0                   ; DW_AT_low_pc
	.long	.Lfunc_end0-.Lfunc_begin0       ; DW_AT_high_pc
	.byte	2                               ; Abbrev [2] 0x2a:0x6 DW_TAG_subprogram
	.long	.Linfo_string3                  ; DW_AT_name
	.byte	1                               ; DW_AT_inline
	.byte	3                               ; Abbrev [3] 0x30:0x45 DW_TAG_subprogram
	.quad	.Lfunc_begin0                   ; DW_AT_low_pc
	.long	.Lfunc_end0-.Lfunc_begin0       ; DW_AT_high_pc
	.long	42                              ; DW_AT_abstract_origin
	.byte	4                               ; Abbrev [4] 0x41:0x1a DW_TAG_inlined_subroutine
	.long	42                              ; DW_AT_abstract_origin
	.long	.Ldebug_ranges0                 ; DW_AT_ranges
	.byte	1                               ; DW_AT_call_file
	.byte	121                             ; DW_AT_call_line
	.byte	25                              ; DW_AT_call_column
	.byte	5                               ; Abbrev [5] 0x4d:0xd DW_TAG_inlined_subroutine
	.long	42                              ; DW_AT_abstract_origin
	.long	.Ldebug_ranges1                 ; DW_AT_ranges
	.byte	2                               ; DW_AT_call_file
	.short	293                             ; DW_AT_call_line
	.byte	36                              ; DW_AT_call_column
	.byte	0                               ; End Of Children Mark
	.byte	4                               ; Abbrev [4] 0x5b:0x19 DW_TAG_inlined_subroutine
	.long	42                              ; DW_AT_abstract_origin
	.long	.Ldebug_ranges2                 ; DW_AT_ranges
	.byte	1                               ; DW_AT_call_file
	.byte	118                             ; DW_AT_call_line
	.byte	42                              ; DW_AT_call_column
	.byte	6                               ; Abbrev [6] 0x67:0xc DW_TAG_inlined_subroutine
	.long	42                              ; DW_AT_abstract_origin
	.long	.Ldebug_ranges3                 ; DW_AT_ranges
	.byte	2                               ; DW_AT_call_file
	.byte	191                             ; DW_AT_call_line
	.byte	40                              ; DW_AT_call_column
	.byte	0                               ; End Of Children Mark
	.byte	0                               ; End Of Children Mark
	;; [unrolled: 1-line block ×3, first 2 shown]
.Ldebug_info_end0:
	.section	.debug_ranges,"",@progbits
.Ldebug_ranges0:
	.quad	.Ltmp2-.Lfunc_begin0
	.quad	.Ltmp3-.Lfunc_begin0
	;; [unrolled: 1-line block ×62, first 2 shown]
	.quad	0
	.quad	0
.Ldebug_ranges1:
	.quad	.Ltmp2-.Lfunc_begin0
	.quad	.Ltmp3-.Lfunc_begin0
	.quad	.Ltmp35-.Lfunc_begin0
	.quad	.Ltmp36-.Lfunc_begin0
	.quad	.Ltmp37-.Lfunc_begin0
	.quad	.Ltmp38-.Lfunc_begin0
	.quad	.Ltmp39-.Lfunc_begin0
	.quad	.Ltmp40-.Lfunc_begin0
	.quad	.Ltmp41-.Lfunc_begin0
	.quad	.Ltmp42-.Lfunc_begin0
	.quad	.Ltmp43-.Lfunc_begin0
	.quad	.Ltmp44-.Lfunc_begin0
	.quad	.Ltmp45-.Lfunc_begin0
	.quad	.Ltmp46-.Lfunc_begin0
	.quad	.Ltmp47-.Lfunc_begin0
	.quad	.Ltmp48-.Lfunc_begin0
	.quad	.Ltmp49-.Lfunc_begin0
	.quad	.Ltmp50-.Lfunc_begin0
	.quad	.Ltmp51-.Lfunc_begin0
	.quad	.Ltmp52-.Lfunc_begin0
	.quad	.Ltmp53-.Lfunc_begin0
	.quad	.Ltmp54-.Lfunc_begin0
	.quad	.Ltmp55-.Lfunc_begin0
	.quad	.Ltmp56-.Lfunc_begin0
	.quad	.Ltmp57-.Lfunc_begin0
	.quad	.Ltmp58-.Lfunc_begin0
	.quad	.Ltmp59-.Lfunc_begin0
	.quad	.Ltmp60-.Lfunc_begin0
	.quad	.Ltmp61-.Lfunc_begin0
	.quad	.Ltmp62-.Lfunc_begin0
	.quad	.Ltmp63-.Lfunc_begin0
	.quad	.Ltmp64-.Lfunc_begin0
	.quad	.Ltmp65-.Lfunc_begin0
	.quad	.Ltmp66-.Lfunc_begin0
	.quad	.Ltmp67-.Lfunc_begin0
	.quad	.Ltmp68-.Lfunc_begin0
	.quad	.Ltmp69-.Lfunc_begin0
	.quad	.Ltmp70-.Lfunc_begin0
	.quad	.Ltmp71-.Lfunc_begin0
	.quad	.Ltmp72-.Lfunc_begin0
	.quad	.Ltmp73-.Lfunc_begin0
	.quad	.Ltmp74-.Lfunc_begin0
	.quad	.Ltmp75-.Lfunc_begin0
	.quad	.Ltmp76-.Lfunc_begin0
	.quad	.Ltmp77-.Lfunc_begin0
	.quad	.Ltmp78-.Lfunc_begin0
	.quad	.Ltmp79-.Lfunc_begin0
	.quad	.Ltmp80-.Lfunc_begin0
	.quad	.Ltmp81-.Lfunc_begin0
	.quad	.Ltmp82-.Lfunc_begin0
	.quad	.Ltmp83-.Lfunc_begin0
	.quad	.Ltmp84-.Lfunc_begin0
	.quad	.Ltmp85-.Lfunc_begin0
	.quad	.Ltmp86-.Lfunc_begin0
	.quad	.Ltmp87-.Lfunc_begin0
	.quad	.Ltmp88-.Lfunc_begin0
	.quad	.Ltmp89-.Lfunc_begin0
	.quad	.Ltmp90-.Lfunc_begin0
	.quad	.Ltmp91-.Lfunc_begin0
	.quad	.Ltmp92-.Lfunc_begin0
	.quad	0
	.quad	0
.Ldebug_ranges2:
	.quad	.Ltmp4-.Lfunc_begin0
	.quad	.Ltmp5-.Lfunc_begin0
	;; [unrolled: 1-line block ×30, first 2 shown]
	.quad	0
	.quad	0
.Ldebug_ranges3:
	.quad	.Ltmp4-.Lfunc_begin0
	.quad	.Ltmp5-.Lfunc_begin0
	.quad	.Ltmp6-.Lfunc_begin0
	.quad	.Ltmp7-.Lfunc_begin0
	.quad	.Ltmp8-.Lfunc_begin0
	.quad	.Ltmp9-.Lfunc_begin0
	.quad	.Ltmp10-.Lfunc_begin0
	.quad	.Ltmp11-.Lfunc_begin0
	.quad	.Ltmp12-.Lfunc_begin0
	.quad	.Ltmp13-.Lfunc_begin0
	.quad	.Ltmp14-.Lfunc_begin0
	.quad	.Ltmp15-.Lfunc_begin0
	.quad	.Ltmp16-.Lfunc_begin0
	.quad	.Ltmp17-.Lfunc_begin0
	.quad	.Ltmp18-.Lfunc_begin0
	.quad	.Ltmp19-.Lfunc_begin0
	.quad	.Ltmp20-.Lfunc_begin0
	.quad	.Ltmp21-.Lfunc_begin0
	.quad	.Ltmp22-.Lfunc_begin0
	.quad	.Ltmp23-.Lfunc_begin0
	.quad	.Ltmp24-.Lfunc_begin0
	.quad	.Ltmp25-.Lfunc_begin0
	.quad	.Ltmp26-.Lfunc_begin0
	.quad	.Ltmp27-.Lfunc_begin0
	.quad	.Ltmp28-.Lfunc_begin0
	.quad	.Ltmp29-.Lfunc_begin0
	.quad	.Ltmp30-.Lfunc_begin0
	.quad	.Ltmp31-.Lfunc_begin0
	.quad	.Ltmp32-.Lfunc_begin0
	.quad	.Ltmp33-.Lfunc_begin0
	.quad	0
	.quad	0
	.section	.debug_str,"MS",@progbits,1
.Linfo_string0:
	.asciz	"triton"                        ; string offset=0
.Linfo_string1:
	.asciz	"triton_prefill_attention_aot.py" ; string offset=7
.Linfo_string2:
	.asciz	"/root/src/amdgpu-assembly/repos/vllm-project__vllm/triton_aot_kernels" ; string offset=39
.Linfo_string3:
	.asciz	"_fwd_kernel"                   ; string offset=109
	.section	".note.GNU-stack","",@progbits
	.amdgpu_metadata
---
amdhsa.kernels:
  - .agpr_count:     0
    .args:
      - .address_space:  global
        .offset:         0
        .size:           8
        .value_kind:     global_buffer
      - .address_space:  global
        .offset:         8
        .size:           8
        .value_kind:     global_buffer
      - .address_space:  global
        .offset:         16
        .size:           8
        .value_kind:     global_buffer
      - .offset:         24
        .size:           4
        .value_kind:     by_value
      - .address_space:  global
        .offset:         32
        .size:           8
        .value_kind:     global_buffer
      - .address_space:  global
        .offset:         40
        .size:           8
        .value_kind:     global_buffer
      - .address_space:  global
        .offset:         48
        .size:           8
        .value_kind:     global_buffer
      - .offset:         56
        .size:           4
        .value_kind:     by_value
      - .offset:         60
        .size:           4
        .value_kind:     by_value
      - .offset:         64
        .size:           4
        .value_kind:     by_value
      - .offset:         68
        .size:           4
        .value_kind:     by_value
      - .offset:         72
        .size:           4
        .value_kind:     by_value
      - .offset:         76
        .size:           4
        .value_kind:     by_value
      - .offset:         80
        .size:           4
        .value_kind:     by_value
      - .offset:         84
        .size:           4
        .value_kind:     by_value
      - .address_space:  global
        .offset:         88
        .size:           8
        .value_kind:     global_buffer
      - .address_space:  global
        .offset:         96
        .size:           8
        .value_kind:     global_buffer
    .group_segment_fixed_size: 0
    .kernarg_segment_align: 8
    .kernarg_segment_size: 104
    .max_flat_workgroup_size: 256
    .name:           _fwd_kernel
    .private_segment_fixed_size: 0
    .sgpr_count:     57
    .sgpr_spill_count: 0
    .symbol:         _fwd_kernel.kd
    .uniform_work_group_size: 1
    .uses_dynamic_stack: false
    .vgpr_count:     220
    .vgpr_spill_count: 0
    .wavefront_size: 64
amdhsa.target:   amdgcn-amd-amdhsa--gfx90a
amdhsa.version:
  - 1
  - 2
...

	.end_amdgpu_metadata
	.section	.debug_line,"",@progbits
.Lline_table_start0:
